;; amdgpu-corpus repo=zjin-lcf/HeCBench kind=compiled arch=gfx1250 opt=O3
	.amdgcn_target "amdgcn-amd-amdhsa--gfx1250"
	.amdhsa_code_object_version 6
	.text
	.protected	_Z6init_xPfii           ; -- Begin function _Z6init_xPfii
	.globl	_Z6init_xPfii
	.p2align	8
	.type	_Z6init_xPfii,@function
_Z6init_xPfii:                          ; @_Z6init_xPfii
; %bb.0:
	s_clause 0x1
	s_load_b32 s4, s[0:1], 0x1c
	s_load_b64 s[2:3], s[0:1], 0x8
	s_bfe_u32 s5, ttmp6, 0x4000c
	s_and_b32 s6, ttmp6, 15
	s_add_co_i32 s5, s5, 1
	s_getreg_b32 s7, hwreg(HW_REG_IB_STS2, 6, 4)
	s_mul_i32 s5, ttmp9, s5
	s_delay_alu instid0(SALU_CYCLE_1)
	s_add_co_i32 s6, s6, s5
	s_wait_kmcnt 0x0
	s_and_b32 s4, s4, 0xffff
	s_cmp_eq_u32 s7, 0
	s_mul_i32 s2, s3, s2
	s_cselect_b32 s5, ttmp9, s6
	s_delay_alu instid0(SALU_CYCLE_1) | instskip(NEXT) | instid1(VALU_DEP_1)
	v_mad_u32 v0, s5, s4, v0
	v_cmp_gt_i32_e32 vcc_lo, s2, v0
	s_and_saveexec_b32 s2, vcc_lo
	s_cbranch_execz .LBB0_2
; %bb.1:
	s_abs_i32 s2, s3
	s_load_b64 s[0:1], s[0:1], 0x0
	s_cvt_f32_u32 s3, s2
	s_sub_co_i32 s4, 0, s2
	v_ashrrev_i32_e32 v3, 31, v0
	s_delay_alu instid0(SALU_CYCLE_1) | instskip(SKIP_1) | instid1(TRANS32_DEP_1)
	v_rcp_iflag_f32_e32 v1, s3
	v_nop
	v_readfirstlane_b32 s3, v1
	v_sub_nc_u32_e32 v1, 0, v0
	s_mul_f32 s3, s3, 0x4f7ffffe
	s_delay_alu instid0(VALU_DEP_1) | instskip(NEXT) | instid1(SALU_CYCLE_2)
	v_max_i32_e32 v1, v0, v1
	s_cvt_u32_f32 s3, s3
	s_delay_alu instid0(SALU_CYCLE_3) | instskip(NEXT) | instid1(SALU_CYCLE_1)
	s_mul_i32 s4, s4, s3
	s_mul_hi_u32 s4, s3, s4
	s_delay_alu instid0(SALU_CYCLE_1) | instskip(NEXT) | instid1(SALU_CYCLE_1)
	s_add_co_i32 s3, s3, s4
	v_mul_hi_u32 v2, v1, s3
	s_delay_alu instid0(VALU_DEP_1) | instskip(NEXT) | instid1(VALU_DEP_1)
	v_mul_lo_u32 v2, v2, s2
	v_sub_nc_u32_e32 v1, v1, v2
	s_delay_alu instid0(VALU_DEP_1) | instskip(SKIP_1) | instid1(VALU_DEP_2)
	v_subrev_nc_u32_e32 v2, s2, v1
	v_cmp_le_u32_e32 vcc_lo, s2, v1
	v_cndmask_b32_e32 v1, v1, v2, vcc_lo
	s_delay_alu instid0(VALU_DEP_1) | instskip(SKIP_1) | instid1(VALU_DEP_2)
	v_subrev_nc_u32_e32 v2, s2, v1
	v_cmp_le_u32_e32 vcc_lo, s2, v1
	v_cndmask_b32_e32 v1, v1, v2, vcc_lo
	s_delay_alu instid0(VALU_DEP_1) | instskip(NEXT) | instid1(VALU_DEP_1)
	v_xor_b32_e32 v1, v1, v3
	v_sub_nc_u32_e32 v1, v1, v3
	s_delay_alu instid0(VALU_DEP_1)
	v_cvt_f32_i32_e32 v1, v1
	s_wait_kmcnt 0x0
	global_store_b32 v0, v1, s[0:1] scale_offset
.LBB0_2:
	s_endpgm
	.section	.rodata,"a",@progbits
	.p2align	6, 0x0
	.amdhsa_kernel _Z6init_xPfii
		.amdhsa_group_segment_fixed_size 0
		.amdhsa_private_segment_fixed_size 0
		.amdhsa_kernarg_size 272
		.amdhsa_user_sgpr_count 2
		.amdhsa_user_sgpr_dispatch_ptr 0
		.amdhsa_user_sgpr_queue_ptr 0
		.amdhsa_user_sgpr_kernarg_segment_ptr 1
		.amdhsa_user_sgpr_dispatch_id 0
		.amdhsa_user_sgpr_kernarg_preload_length 0
		.amdhsa_user_sgpr_kernarg_preload_offset 0
		.amdhsa_user_sgpr_private_segment_size 0
		.amdhsa_wavefront_size32 1
		.amdhsa_uses_dynamic_stack 0
		.amdhsa_enable_private_segment 0
		.amdhsa_system_sgpr_workgroup_id_x 1
		.amdhsa_system_sgpr_workgroup_id_y 0
		.amdhsa_system_sgpr_workgroup_id_z 0
		.amdhsa_system_sgpr_workgroup_info 0
		.amdhsa_system_vgpr_workitem_id 0
		.amdhsa_next_free_vgpr 4
		.amdhsa_next_free_sgpr 8
		.amdhsa_named_barrier_count 0
		.amdhsa_reserve_vcc 1
		.amdhsa_float_round_mode_32 0
		.amdhsa_float_round_mode_16_64 0
		.amdhsa_float_denorm_mode_32 3
		.amdhsa_float_denorm_mode_16_64 3
		.amdhsa_fp16_overflow 0
		.amdhsa_memory_ordered 1
		.amdhsa_forward_progress 1
		.amdhsa_inst_pref_size 3
		.amdhsa_round_robin_scheduling 0
		.amdhsa_exception_fp_ieee_invalid_op 0
		.amdhsa_exception_fp_denorm_src 0
		.amdhsa_exception_fp_ieee_div_zero 0
		.amdhsa_exception_fp_ieee_overflow 0
		.amdhsa_exception_fp_ieee_underflow 0
		.amdhsa_exception_fp_ieee_inexact 0
		.amdhsa_exception_int_div_zero 0
	.end_amdhsa_kernel
	.text
.Lfunc_end0:
	.size	_Z6init_xPfii, .Lfunc_end0-_Z6init_xPfii
                                        ; -- End function
	.set _Z6init_xPfii.num_vgpr, 4
	.set _Z6init_xPfii.num_agpr, 0
	.set _Z6init_xPfii.numbered_sgpr, 8
	.set _Z6init_xPfii.num_named_barrier, 0
	.set _Z6init_xPfii.private_seg_size, 0
	.set _Z6init_xPfii.uses_vcc, 1
	.set _Z6init_xPfii.uses_flat_scratch, 0
	.set _Z6init_xPfii.has_dyn_sized_stack, 0
	.set _Z6init_xPfii.has_recursion, 0
	.set _Z6init_xPfii.has_indirect_call, 0
	.section	.AMDGPU.csdata,"",@progbits
; Kernel info:
; codeLenInByte = 280
; TotalNumSgprs: 10
; NumVgprs: 4
; ScratchSize: 0
; MemoryBound: 0
; FloatMode: 240
; IeeeMode: 1
; LDSByteSize: 0 bytes/workgroup (compile time only)
; SGPRBlocks: 0
; VGPRBlocks: 0
; NumSGPRsForWavesPerEU: 10
; NumVGPRsForWavesPerEU: 4
; NamedBarCnt: 0
; Occupancy: 16
; WaveLimiterHint : 0
; COMPUTE_PGM_RSRC2:SCRATCH_EN: 0
; COMPUTE_PGM_RSRC2:USER_SGPR: 2
; COMPUTE_PGM_RSRC2:TRAP_HANDLER: 0
; COMPUTE_PGM_RSRC2:TGID_X_EN: 1
; COMPUTE_PGM_RSRC2:TGID_Y_EN: 0
; COMPUTE_PGM_RSRC2:TGID_Z_EN: 0
; COMPUTE_PGM_RSRC2:TIDIG_COMP_CNT: 0
	.text
	.protected	_Z12shuffle_rowsPfiij   ; -- Begin function _Z12shuffle_rowsPfiij
	.globl	_Z12shuffle_rowsPfiij
	.p2align	8
	.type	_Z12shuffle_rowsPfiij,@function
_Z12shuffle_rowsPfiij:                  ; @_Z12shuffle_rowsPfiij
; %bb.0:
	s_load_b96 s[4:6], s[0:1], 0x8
	s_bfe_u32 s2, ttmp6, 0x4000c
	s_and_b32 s3, ttmp6, 15
	s_add_co_i32 s2, s2, 1
	s_getreg_b32 s7, hwreg(HW_REG_IB_STS2, 6, 4)
	s_mul_i32 s2, ttmp9, s2
	s_delay_alu instid0(SALU_CYCLE_1)
	s_add_co_i32 s3, s3, s2
	s_cmp_eq_u32 s7, 0
	s_cselect_b32 s2, ttmp9, s3
	s_wait_kmcnt 0x0
	s_cmp_ge_i32 s2, s4
	s_cbranch_scc1 .LBB1_4
; %bb.1:
	s_cmp_lt_i32 s5, 2
	s_cbranch_scc1 .LBB1_4
; %bb.2:
	s_load_b64 s[8:9], s[0:1], 0x0
	s_wait_xcnt 0x0
	s_mul_i32 s0, s5, s2
	s_xor_b32 s6, s6, s2
	s_mov_b32 s3, 0
	s_add_co_i32 s2, s5, -1
	s_ashr_i32 s1, s0, 31
	s_lshl_b64 s[2:3], s[2:3], 2
	s_lshl_b64 s[0:1], s[0:1], 2
	v_mov_b32_e32 v0, 0
	s_add_nc_u64 s[2:3], s[0:1], s[2:3]
	s_sub_co_i32 s4, 0, s5
	s_wait_kmcnt 0x0
	s_add_nc_u64 s[0:1], s[8:9], s[0:1]
	s_add_nc_u64 s[2:3], s[8:9], s[2:3]
.LBB1_3:                                ; =>This Inner Loop Header: Depth=1
	s_cvt_f32_u32 s7, s5
	s_lshl_b32 s8, s6, 13
	s_add_co_i32 s9, s5, -1
	s_xor_b32 s6, s8, s6
	s_wait_xcnt 0x0
	v_rcp_iflag_f32_e32 v1, s7
	s_lshr_b32 s8, s6, 17
	s_delay_alu instid0(SALU_CYCLE_1) | instskip(NEXT) | instid1(SALU_CYCLE_1)
	s_xor_b32 s6, s8, s6
	s_lshl_b32 s8, s6, 5
	s_delay_alu instid0(SALU_CYCLE_1) | instskip(SKIP_1) | instid1(TRANS32_DEP_1)
	s_xor_b32 s6, s8, s6
	v_nop
	v_readfirstlane_b32 s7, v1
	s_mul_f32 s7, s7, 0x4f7ffffe
	s_delay_alu instid0(SALU_CYCLE_3) | instskip(NEXT) | instid1(SALU_CYCLE_3)
	s_cvt_u32_f32 s7, s7
	s_mul_i32 s8, s4, s7
	s_delay_alu instid0(SALU_CYCLE_1) | instskip(NEXT) | instid1(SALU_CYCLE_1)
	s_mul_hi_u32 s8, s7, s8
	s_add_co_i32 s7, s7, s8
	s_delay_alu instid0(SALU_CYCLE_1) | instskip(NEXT) | instid1(SALU_CYCLE_1)
	s_mul_hi_u32 s7, s6, s7
	s_mul_i32 s7, s7, s5
	s_delay_alu instid0(SALU_CYCLE_1) | instskip(NEXT) | instid1(SALU_CYCLE_1)
	s_sub_co_i32 s7, s6, s7
	s_sub_co_i32 s8, s7, s5
	s_cmp_ge_u32 s7, s5
	s_cselect_b32 s7, s8, s7
	s_delay_alu instid0(SALU_CYCLE_1)
	s_add_co_i32 s8, s7, s4
	s_cmp_ge_u32 s7, s5
	s_cselect_b32 s7, s8, s7
	s_add_co_i32 s4, s4, 1
	v_mov_b32_e32 v1, s7
	s_cmp_gt_u32 s5, 2
	s_mov_b32 s5, s9
	global_load_b32 v2, v1, s[0:1] scale_offset
	global_load_b32 v3, v0, s[2:3]
	s_wait_loadcnt 0x1
	global_store_b32 v0, v2, s[2:3]
	s_wait_xcnt 0x0
	s_add_nc_u64 s[2:3], s[2:3], -4
	s_wait_loadcnt 0x0
	global_store_b32 v1, v3, s[0:1] scale_offset
	s_cbranch_scc1 .LBB1_3
.LBB1_4:
	s_endpgm
	.section	.rodata,"a",@progbits
	.p2align	6, 0x0
	.amdhsa_kernel _Z12shuffle_rowsPfiij
		.amdhsa_group_segment_fixed_size 0
		.amdhsa_private_segment_fixed_size 0
		.amdhsa_kernarg_size 20
		.amdhsa_user_sgpr_count 2
		.amdhsa_user_sgpr_dispatch_ptr 0
		.amdhsa_user_sgpr_queue_ptr 0
		.amdhsa_user_sgpr_kernarg_segment_ptr 1
		.amdhsa_user_sgpr_dispatch_id 0
		.amdhsa_user_sgpr_kernarg_preload_length 0
		.amdhsa_user_sgpr_kernarg_preload_offset 0
		.amdhsa_user_sgpr_private_segment_size 0
		.amdhsa_wavefront_size32 1
		.amdhsa_uses_dynamic_stack 0
		.amdhsa_enable_private_segment 0
		.amdhsa_system_sgpr_workgroup_id_x 1
		.amdhsa_system_sgpr_workgroup_id_y 0
		.amdhsa_system_sgpr_workgroup_id_z 0
		.amdhsa_system_sgpr_workgroup_info 0
		.amdhsa_system_vgpr_workitem_id 0
		.amdhsa_next_free_vgpr 4
		.amdhsa_next_free_sgpr 10
		.amdhsa_named_barrier_count 0
		.amdhsa_reserve_vcc 0
		.amdhsa_float_round_mode_32 0
		.amdhsa_float_round_mode_16_64 0
		.amdhsa_float_denorm_mode_32 3
		.amdhsa_float_denorm_mode_16_64 3
		.amdhsa_fp16_overflow 0
		.amdhsa_memory_ordered 1
		.amdhsa_forward_progress 1
		.amdhsa_inst_pref_size 3
		.amdhsa_round_robin_scheduling 0
		.amdhsa_exception_fp_ieee_invalid_op 0
		.amdhsa_exception_fp_denorm_src 0
		.amdhsa_exception_fp_ieee_div_zero 0
		.amdhsa_exception_fp_ieee_overflow 0
		.amdhsa_exception_fp_ieee_underflow 0
		.amdhsa_exception_fp_ieee_inexact 0
		.amdhsa_exception_int_div_zero 0
	.end_amdhsa_kernel
	.text
.Lfunc_end1:
	.size	_Z12shuffle_rowsPfiij, .Lfunc_end1-_Z12shuffle_rowsPfiij
                                        ; -- End function
	.set _Z12shuffle_rowsPfiij.num_vgpr, 4
	.set _Z12shuffle_rowsPfiij.num_agpr, 0
	.set _Z12shuffle_rowsPfiij.numbered_sgpr, 10
	.set _Z12shuffle_rowsPfiij.num_named_barrier, 0
	.set _Z12shuffle_rowsPfiij.private_seg_size, 0
	.set _Z12shuffle_rowsPfiij.uses_vcc, 0
	.set _Z12shuffle_rowsPfiij.uses_flat_scratch, 0
	.set _Z12shuffle_rowsPfiij.has_dyn_sized_stack, 0
	.set _Z12shuffle_rowsPfiij.has_recursion, 0
	.set _Z12shuffle_rowsPfiij.has_indirect_call, 0
	.section	.AMDGPU.csdata,"",@progbits
; Kernel info:
; codeLenInByte = 356
; TotalNumSgprs: 10
; NumVgprs: 4
; ScratchSize: 0
; MemoryBound: 0
; FloatMode: 240
; IeeeMode: 1
; LDSByteSize: 0 bytes/workgroup (compile time only)
; SGPRBlocks: 0
; VGPRBlocks: 0
; NumSGPRsForWavesPerEU: 10
; NumVGPRsForWavesPerEU: 4
; NamedBarCnt: 0
; Occupancy: 16
; WaveLimiterHint : 0
; COMPUTE_PGM_RSRC2:SCRATCH_EN: 0
; COMPUTE_PGM_RSRC2:USER_SGPR: 2
; COMPUTE_PGM_RSRC2:TRAP_HANDLER: 0
; COMPUTE_PGM_RSRC2:TGID_X_EN: 1
; COMPUTE_PGM_RSRC2:TGID_Y_EN: 0
; COMPUTE_PGM_RSRC2:TGID_Z_EN: 0
; COMPUTE_PGM_RSRC2:TIDIG_COMP_CNT: 0
	.section	.text._Z27radix_topk_one_block_kernelIfiLi11ELi1024ELb1ELb0EL5Phase0EEvPKT_PKT0_lS6_S6_S4_PS1_PS4_bPci,"axG",@progbits,_Z27radix_topk_one_block_kernelIfiLi11ELi1024ELb1ELb0EL5Phase0EEvPKT_PKT0_lS6_S6_S4_PS1_PS4_bPci,comdat
	.protected	_Z27radix_topk_one_block_kernelIfiLi11ELi1024ELb1ELb0EL5Phase0EEvPKT_PKT0_lS6_S6_S4_PS1_PS4_bPci ; -- Begin function _Z27radix_topk_one_block_kernelIfiLi11ELi1024ELb1ELb0EL5Phase0EEvPKT_PKT0_lS6_S6_S4_PS1_PS4_bPci
	.globl	_Z27radix_topk_one_block_kernelIfiLi11ELi1024ELb1ELb0EL5Phase0EEvPKT_PKT0_lS6_S6_S4_PS1_PS4_bPci
	.p2align	8
	.type	_Z27radix_topk_one_block_kernelIfiLi11ELi1024ELb1ELb0EL5Phase0EEvPKT_PKT0_lS6_S6_S4_PS1_PS4_bPci,@function
_Z27radix_topk_one_block_kernelIfiLi11ELi1024ELb1ELb0EL5Phase0EEvPKT_PKT0_lS6_S6_S4_PS1_PS4_bPci: ; @_Z27radix_topk_one_block_kernelIfiLi11ELi1024ELb1ELb0EL5Phase0EEvPKT_PKT0_lS6_S6_S4_PS1_PS4_bPci
; %bb.0:
	s_clause 0x1
	s_load_b256 s[4:11], s[0:1], 0x0
	s_load_b64 s[2:3], s[0:1], 0x20
	s_bfe_u32 s12, ttmp6, 0x4000c
	s_and_b32 s13, ttmp6, 15
	s_add_co_i32 s12, s12, 1
	s_getreg_b32 s14, hwreg(HW_REG_IB_STS2, 6, 4)
	s_mul_i32 s12, ttmp9, s12
	s_mov_b32 s19, 0
	s_add_co_i32 s13, s13, s12
	s_cmp_eq_u32 s14, 0
	s_mov_b32 s20, s19
	s_cselect_b32 s18, ttmp9, s13
	s_wait_kmcnt 0x0
	s_cmp_eq_u64 s[10:11], 0
	s_cselect_b32 s12, -1, 0
	s_cmp_eq_u64 s[2:3], 0
	s_cselect_b32 s13, -1, 0
	s_delay_alu instid0(SALU_CYCLE_1) | instskip(NEXT) | instid1(SALU_CYCLE_1)
	s_or_b32 s12, s12, s13
	s_and_b32 vcc_lo, exec_lo, s12
	s_mov_b32 s12, s8
	s_cbranch_vccnz .LBB2_2
; %bb.1:
	s_lshl_b64 s[12:13], s[18:19], 2
	s_delay_alu instid0(SALU_CYCLE_1)
	s_add_nc_u64 s[10:11], s[10:11], s[12:13]
	s_add_nc_u64 s[2:3], s[2:3], s[12:13]
	s_load_b32 s20, s[10:11], 0x0
	s_load_b32 s12, s[2:3], 0x0
.LBB2_2:
	s_wait_xcnt 0x0
	s_load_b32 s10, s[0:1], 0x28
	v_cmp_ne_u32_e64 s2, 0, v0
	v_cmp_eq_u32_e64 s3, 0, v0
	s_wait_kmcnt 0x0
	s_sub_co_i32 s33, s12, s20
	s_and_saveexec_b32 s11, s3
	s_cbranch_execz .LBB2_4
; %bb.3:
	v_dual_mov_b32 v3, s33 :: v_dual_mov_b32 v5, 0
	v_dual_mov_b32 v2, s10 :: v_dual_mov_b32 v4, s33
	ds_store_b128 v5, v[2:5]
	ds_store_2addr_b32 v5, v5, v5 offset0:96 offset1:128
.LBB2_4:
	s_or_b32 exec_lo, exec_lo, s11
	s_load_b128 s[12:15], s[0:1], 0x30
	s_mul_u64 s[16:17], s[8:9], s[18:19]
	s_ashr_i32 s11, s10, 31
	s_lshl_b64 s[22:23], s[16:17], 2
	s_cmp_gt_i32 s33, s10
	s_add_nc_u64 s[16:17], s[4:5], s[22:23]
	s_mul_u64 s[4:5], s[10:11], s[18:19]
	s_mov_b32 s9, -1
	s_wait_dscnt 0x0
	s_barrier_signal -1
	s_barrier_wait -1
	s_cbranch_scc1 .LBB2_11
; %bb.5:
	s_mov_b32 s9, exec_lo
	v_cmpx_gt_i32_e64 s10, v0
	s_cbranch_execz .LBB2_10
; %bb.6:
	v_dual_mov_b32 v3, 0 :: v_dual_lshlrev_b32 v2, 2, v0
	v_mov_b32_e32 v1, v0
	s_mov_b32 s11, 0
	s_delay_alu instid0(VALU_DEP_2) | instskip(SKIP_1) | instid1(VALU_DEP_1)
	v_lshl_add_u64 v[4:5], s[4:5], 2, v[2:3]
	s_wait_kmcnt 0x0
	v_add_nc_u64_e32 v[2:3], s[14:15], v[4:5]
	v_add_nc_u64_e32 v[4:5], s[12:13], v[4:5]
	s_branch .LBB2_8
.LBB2_7:                                ;   in Loop: Header=BB2_8 Depth=1
	s_wait_xcnt 0x0
	s_or_b32 exec_lo, exec_lo, s21
	v_add_nc_u32_e32 v1, 0x400, v1
	s_wait_loadcnt 0x0
	global_store_b32 v[4:5], v6, off
	v_add_nc_u64_e32 v[2:3], 0x1000, v[2:3]
	s_wait_xcnt 0x0
	v_add_nc_u64_e32 v[4:5], 0x1000, v[4:5]
	v_cmp_le_i32_e32 vcc_lo, s10, v1
	s_or_b32 s11, vcc_lo, s11
	s_delay_alu instid0(SALU_CYCLE_1)
	s_and_not1_b32 exec_lo, exec_lo, s11
	s_cbranch_execz .LBB2_10
.LBB2_8:                                ; =>This Inner Loop Header: Depth=1
	v_dual_mov_b32 v6, 0 :: v_dual_add_nc_u32 v7, s20, v1
	v_cmp_gt_i32_e32 vcc_lo, s33, v1
	s_delay_alu instid0(VALU_DEP_2)
	v_cndmask_b32_e32 v8, -1, v7, vcc_lo
	global_store_b32 v[2:3], v8, off
	s_wait_xcnt 0x0
	s_and_saveexec_b32 s21, vcc_lo
	s_cbranch_execz .LBB2_7
; %bb.9:                                ;   in Loop: Header=BB2_8 Depth=1
	global_load_b32 v6, v7, s[16:17] scale_offset
	s_branch .LBB2_7
.LBB2_10:
	s_or_b32 exec_lo, exec_lo, s9
	s_mov_b32 s9, 0
.LBB2_11:
	s_delay_alu instid0(SALU_CYCLE_1)
	s_and_not1_b32 vcc_lo, exec_lo, s9
	s_cbranch_vccnz .LBB2_221
; %bb.12:
	v_or_b32_e32 v2, 0x400, v0
	s_clause 0x1
	s_load_b32 s11, s[0:1], 0x64
	s_load_b64 s[24:25], s[0:1], 0x48
	v_dual_lshrrev_b32 v1, 3, v0 :: v_dual_lshlrev_b32 v9, 2, v0
	v_dual_lshrrev_b32 v3, 2, v0 :: v_dual_lshrrev_b32 v2, 3, v2
	v_sub_nc_u32_e32 v4, 0xffe, v0
	s_delay_alu instid0(VALU_DEP_3) | instskip(SKIP_1) | instid1(VALU_DEP_4)
	v_and_b32_e32 v1, 0x7c, v1
	v_mov_b32_e32 v12, 0
	v_and_b32_e32 v3, 0xfc, v3
	v_and_b32_e32 v2, 0xfc, v2
	s_wait_xcnt 0x0
	s_lshl_b64 s[0:1], s[4:5], 2
	v_add3_u32 v10, v9, v1, 0x4280
	v_or_b32_e32 v13, 0x6380, v1
	v_sub_nc_u32_e32 v1, 0x1000, v0
	v_add3_u32 v11, v2, v9, 0x4280
	v_add_nc_u32_e32 v2, 0x4280, v3
	v_dual_lshlrev_b32 v3, 3, v0 :: v_dual_add_nc_u32 v5, -1, v0
	v_lshrrev_b32_e32 v4, 1, v4
	s_add_nc_u64 s[4:5], s[6:7], s[22:23]
	s_cmp_lg_u64 s[6:7], 0
	s_wait_kmcnt 0x0
	s_add_nc_u64 s[6:7], s[12:13], s[0:1]
	s_cselect_b32 s13, s5, 0
	s_cselect_b32 s12, s4, 0
	s_lshr_b32 s4, s8, 5
	v_dual_lshrrev_b32 v6, 3, v5 :: v_dual_add_nc_u32 v4, 1, v4
	v_lshlrev_b32_e32 v5, 2, v5
	v_and_b32_e32 v7, 0x1ffe, v1
	s_mov_b32 s23, 0
	s_and_b32 s22, s4, 0x7ffffc0
	s_add_nc_u64 s[8:9], s[14:15], s[0:1]
	s_mul_u64 s[0:1], s[18:19], s[22:23]
	s_and_b32 s11, s11, 0xffff
	s_lshl_b64 s[0:1], s[0:1], 4
	v_and_b32_e32 v6, 0x1ffffffc, v6
	v_dual_lshlrev_b32 v4, 1, v4 :: v_dual_bitop2_b32 v8, 7, v4 bitop3:0x40
	v_add_nc_u32_e32 v16, v0, v7
	s_cmp_eq_u32 s11, 1
	s_add_nc_u64 s[24:25], s[24:25], s[0:1]
	s_cselect_b32 s42, -1, 0
	s_lshl_b32 s4, s22, 3
	s_mov_b32 s5, s23
	s_movk_i32 s1, 0x84
	s_lshl_b32 s14, s22, 2
	s_mov_b32 s15, s23
	v_cmp_gt_u32_e64 s0, 32, v0
	s_add_nc_u64 s[26:27], s[24:25], s[4:5]
	v_mad_u32_u24 v14, v0, s1, 0x4280
	v_add3_u32 v15, v6, v5, 0x4280
	v_cmp_ne_u32_e64 s1, 0, v8
	v_cmp_ne_u32_e64 s4, v1, v7
	v_dual_mov_b32 v22, 1 :: v_dual_add_nc_u32 v17, 0x280, v9
	v_and_b32_e32 v18, 0x1ff0, v4
	v_lshlrev_b32_e32 v19, 3, v8
	v_add_nc_u32_e32 v20, 0x27c, v9
	v_dual_lshlrev_b32 v21, 2, v16 :: v_dual_add_nc_u32 v25, v2, v3
	v_mov_b32_e32 v23, 0x7c
	v_mbcnt_lo_u32_b32 v24, -1, 0
	s_sub_nc_u64 s[18:19], 0, s[14:15]
	s_mov_b64 s[20:21], src_shared_base
	s_add_nc_u64 s[28:29], s[26:27], s[18:19]
	s_add_nc_u64 s[30:31], s[26:27], s[14:15]
	s_lshl_b32 s43, s11, 2
	s_branch .LBB2_14
.LBB2_13:                               ;   in Loop: Header=BB2_14 Depth=1
	s_delay_alu instid0(VALU_DEP_1)
	s_and_not1_b32 vcc_lo, exec_lo, s34
	s_cbranch_vccz .LBB2_147
.LBB2_14:                               ; =>This Loop Header: Depth=1
                                        ;     Child Loop BB2_21 Depth 2
                                        ;     Child Loop BB2_24 Depth 2
	;; [unrolled: 1-line block ×8, first 2 shown]
	s_mov_b64 s[38:39], 0
	s_cmp_lt_i32 s23, 1
	s_mov_b64 s[18:19], s[16:17]
	s_mov_b64 s[36:37], 0
	;; [unrolled: 1-line block ×3, first 2 shown]
	s_cbranch_scc1 .LBB2_19
; %bb.15:                               ;   in Loop: Header=BB2_14 Depth=1
	s_cmp_lg_u32 s23, 1
	s_mov_b32 s5, -1
	s_cbranch_scc0 .LBB2_17
; %bb.16:                               ;   in Loop: Header=BB2_14 Depth=1
	s_mov_b32 s5, 0
.LBB2_17:                               ;   in Loop: Header=BB2_14 Depth=1
	s_mov_b64 s[14:15], s[30:31]
	s_mov_b64 s[36:37], s[28:29]
	s_and_not1_b32 vcc_lo, exec_lo, s5
	s_mov_b64 s[38:39], s[26:27]
	s_mov_b64 s[18:19], s[24:25]
	s_cbranch_vccnz .LBB2_19
; %bb.18:                               ;   in Loop: Header=BB2_14 Depth=1
	s_mov_b64 s[14:15], s[26:27]
	s_mov_b64 s[36:37], s[24:25]
	;; [unrolled: 1-line block ×4, first 2 shown]
.LBB2_19:                               ;   in Loop: Header=BB2_14 Depth=1
	ds_load_b96 v[2:4], v12
	v_mov_b32_e32 v1, v0
	s_and_not1_b32 vcc_lo, exec_lo, s42
	s_mov_b32 s34, -1
	s_wait_dscnt 0x0
	v_readfirstlane_b32 s44, v2
	v_readfirstlane_b32 s40, v3
	;; [unrolled: 1-line block ×3, first 2 shown]
	v_mov_b32_e32 v2, v9
	s_cbranch_vccnz .LBB2_28
; %bb.20:                               ;   in Loop: Header=BB2_14 Depth=1
	v_mov_b32_e32 v1, v17
	s_mov_b32 s20, 0
	s_mov_b32 s34, 0
.LBB2_21:                               ;   Parent Loop BB2_14 Depth=1
                                        ; =>  This Inner Loop Header: Depth=2
	s_delay_alu instid0(SALU_CYCLE_1)
	s_add_co_i32 s34, s34, 16
	ds_store_2addr_b32 v1, v12, v12 offset1:1
	ds_store_2addr_b32 v1, v12, v12 offset0:2 offset1:3
	ds_store_2addr_b32 v1, v12, v12 offset0:4 offset1:5
	;; [unrolled: 1-line block ×3, first 2 shown]
	v_cmp_eq_u32_e32 vcc_lo, s34, v18
	ds_store_2addr_b32 v1, v12, v12 offset0:8 offset1:9
	ds_store_2addr_b32 v1, v12, v12 offset0:10 offset1:11
	;; [unrolled: 1-line block ×4, first 2 shown]
	v_add_nc_u32_e32 v1, 64, v1
	s_or_b32 s20, vcc_lo, s20
	s_delay_alu instid0(SALU_CYCLE_1)
	s_and_not1_b32 exec_lo, exec_lo, s20
	s_cbranch_execnz .LBB2_21
; %bb.22:                               ;   in Loop: Header=BB2_14 Depth=1
	s_or_b32 exec_lo, exec_lo, s20
	s_and_saveexec_b32 s20, s1
	s_cbranch_execz .LBB2_25
; %bb.23:                               ;   in Loop: Header=BB2_14 Depth=1
	s_mov_b32 s34, 0
	s_mov_b32 s35, 0
.LBB2_24:                               ;   Parent Loop BB2_14 Depth=1
                                        ; =>  This Inner Loop Header: Depth=2
	s_delay_alu instid0(SALU_CYCLE_1) | instskip(SKIP_1) | instid1(SALU_CYCLE_1)
	v_add_nc_u32_e32 v2, s35, v1
	s_add_co_i32 s35, s35, 8
	v_cmp_eq_u32_e32 vcc_lo, s35, v19
	ds_store_2addr_b32 v2, v12, v12 offset1:1
	s_or_b32 s34, vcc_lo, s34
	s_delay_alu instid0(SALU_CYCLE_1)
	s_and_not1_b32 exec_lo, exec_lo, s34
	s_cbranch_execnz .LBB2_24
.LBB2_25:                               ;   in Loop: Header=BB2_14 Depth=1
	s_or_b32 exec_lo, exec_lo, s20
	s_mov_b32 s34, 0
	s_and_saveexec_b32 s20, s4
; %bb.26:                               ;   in Loop: Header=BB2_14 Depth=1
	s_mov_b32 s34, exec_lo
; %bb.27:                               ;   in Loop: Header=BB2_14 Depth=1
	s_or_b32 exec_lo, exec_lo, s20
	v_dual_mov_b32 v1, v16 :: v_dual_mov_b32 v2, v21
.LBB2_28:                               ;   in Loop: Header=BB2_14 Depth=1
	s_and_saveexec_b32 s20, s34
	s_cbranch_execz .LBB2_31
; %bb.29:                               ;   in Loop: Header=BB2_14 Depth=1
	s_delay_alu instid0(VALU_DEP_1)
	v_add_nc_u32_e32 v2, 0x280, v2
	s_mov_b32 s34, 0
.LBB2_30:                               ;   Parent Loop BB2_14 Depth=1
                                        ; =>  This Inner Loop Header: Depth=2
	v_add_nc_u32_e32 v1, s11, v1
	ds_store_b32 v2, v12
	v_add_nc_u32_e32 v2, s43, v2
	v_cmp_lt_u32_e32 vcc_lo, 0xfff, v1
	s_or_b32 s34, vcc_lo, s34
	s_delay_alu instid0(SALU_CYCLE_1)
	s_and_not1_b32 exec_lo, exec_lo, s34
	s_cbranch_execnz .LBB2_30
.LBB2_31:                               ;   in Loop: Header=BB2_14 Depth=1
	s_or_b32 exec_lo, exec_lo, s20
	s_and_saveexec_b32 s20, s3
; %bb.32:                               ;   in Loop: Header=BB2_14 Depth=1
	ds_store_b32 v12, v12 offset:128
; %bb.33:                               ;   in Loop: Header=BB2_14 Depth=1
	s_or_b32 exec_lo, exec_lo, s20
	s_cmp_gt_i32 s5, s22
	s_mul_i32 s47, s23, -11
	s_cselect_b32 s48, -1, 0
	s_cmp_gt_i32 s40, s22
	s_wait_storecnt_dscnt 0x0
	s_cselect_b32 s41, -1, 0
	s_and_b32 s20, s48, exec_lo
	s_cselect_b32 s35, s17, s19
	s_cselect_b32 s34, s16, s18
	;; [unrolled: 1-line block ×3, first 2 shown]
	s_and_b32 s5, s41, exec_lo
	s_cselect_b32 s19, 0, s37
	s_cselect_b32 s18, 0, s36
	s_max_i32 s20, s47, 0xffffffeb
	s_add_co_i32 s47, s47, 32
	s_add_co_i32 s20, s20, 21
	s_barrier_signal -1
	s_sub_co_i32 s5, s47, s20
	s_barrier_wait -1
	s_lshl_b32 s5, -1, s5
	s_delay_alu instid0(SALU_CYCLE_1)
	s_not_b32 s45, s5
	s_cmp_lg_u32 s23, 0
	s_cbranch_scc0 .LBB2_49
; %bb.34:                               ;   in Loop: Header=BB2_14 Depth=1
	ds_load_b32 v1, v12 offset:12
	v_cmp_gt_i32_e64 s5, s46, v0
	s_cmp_lg_u64 s[18:19], 0
	s_cbranch_scc0 .LBB2_51
; %bb.35:                               ;   in Loop: Header=BB2_14 Depth=1
	s_and_b32 s48, s48, exec_lo
	s_cselect_b32 s39, s13, s39
	s_cselect_b32 s38, s12, s38
	s_delay_alu instid0(SALU_CYCLE_1)
	s_cmp_eq_u64 s[38:39], 0
	s_cbranch_scc1 .LBB2_52
; %bb.36:                               ;   in Loop: Header=BB2_14 Depth=1
	s_and_saveexec_b32 s48, s5
	s_cbranch_execz .LBB2_50
; %bb.37:                               ;   in Loop: Header=BB2_14 Depth=1
	v_mov_b32_e32 v2, v0
	s_lshl_b32 s49, -1, s47
	s_mov_b32 s50, 0
	s_branch .LBB2_40
.LBB2_38:                               ;   in Loop: Header=BB2_40 Depth=2
	s_or_b32 exec_lo, exec_lo, s52
	v_lshl_add_u64 v[26:27], v[2:3], 2, s[38:39]
	s_wait_dscnt 0x0
	v_readfirstlane_b32 s52, v7
	v_xor_b32_e32 v5, v5, v4
	global_load_b32 v3, v[26:27], off
	v_dual_add_nc_u32 v6, s52, v6 :: v_dual_lshrrev_b32 v5, s20, v5
	global_store_b32 v6, v4, s[36:37] scale_offset
	s_wait_loadcnt 0x0
	global_store_b32 v6, v3, s[14:15] scale_offset
	v_and_b32_e32 v5, s45, v5
	s_delay_alu instid0(VALU_DEP_1)
	v_lshlrev_b32_e32 v5, 2, v5
	ds_add_u32 v5, v22 offset:640
.LBB2_39:                               ;   in Loop: Header=BB2_40 Depth=2
	s_wait_xcnt 0x0
	s_or_b32 exec_lo, exec_lo, s51
	v_add_nc_u32_e32 v2, s11, v2
	s_delay_alu instid0(VALU_DEP_1) | instskip(SKIP_1) | instid1(SALU_CYCLE_1)
	v_cmp_le_i32_e32 vcc_lo, s46, v2
	s_or_b32 s50, vcc_lo, s50
	s_and_not1_b32 exec_lo, exec_lo, s50
	s_cbranch_execz .LBB2_50
.LBB2_40:                               ;   Parent Loop BB2_14 Depth=1
                                        ; =>  This Inner Loop Header: Depth=2
	global_load_b32 v4, v2, s[34:35] scale_offset
	v_ashrrev_i32_e32 v3, 31, v2
	s_mov_b32 s51, exec_lo
	s_wait_loadcnt 0x0
	v_cmp_gt_f32_e32 vcc_lo, 0, v4
	v_cndmask_b32_e64 v5, 0x7fffffff, 0, vcc_lo
	s_delay_alu instid0(VALU_DEP_1) | instskip(SKIP_2) | instid1(VALU_DEP_1)
	v_bitop3_b32 v6, v5, s49, v4 bitop3:0x48
	s_wait_dscnt 0x0
	s_wait_xcnt 0x0
	v_cmpx_ne_u32_e64 v6, v1
	s_xor_b32 s51, exec_lo, s51
	s_cbranch_execz .LBB2_46
; %bb.41:                               ;   in Loop: Header=BB2_40 Depth=2
	s_mov_b32 s52, exec_lo
	v_cmpx_lt_u32_e64 v6, v1
	s_cbranch_execz .LBB2_45
; %bb.42:                               ;   in Loop: Header=BB2_40 Depth=2
	s_mov_b32 s54, exec_lo
	s_mov_b32 s53, exec_lo
	v_mbcnt_lo_u32_b32 v5, s54, 0
                                        ; implicit-def: $vgpr6
	s_delay_alu instid0(VALU_DEP_1)
	v_cmpx_eq_u32_e32 0, v5
; %bb.43:                               ;   in Loop: Header=BB2_40 Depth=2
	s_bcnt1_i32_b32 s54, s54
	s_delay_alu instid0(SALU_CYCLE_1)
	v_mov_b32_e32 v6, s54
	ds_add_rtn_u32 v6, v12, v6 offset:384
; %bb.44:                               ;   in Loop: Header=BB2_40 Depth=2
	s_or_b32 exec_lo, exec_lo, s53
	v_lshl_add_u64 v[26:27], v[2:3], 2, s[38:39]
	s_wait_dscnt 0x0
	v_readfirstlane_b32 s53, v6
	global_load_b32 v7, v[26:27], off
	v_add_nc_u32_e32 v5, s53, v5
	global_store_b32 v5, v4, s[6:7] scale_offset
	s_wait_loadcnt 0x0
	global_store_b32 v5, v7, s[8:9] scale_offset
.LBB2_45:                               ;   in Loop: Header=BB2_40 Depth=2
	s_wait_xcnt 0x0
	s_or_b32 exec_lo, exec_lo, s52
                                        ; implicit-def: $vgpr5
                                        ; implicit-def: $vgpr4
.LBB2_46:                               ;   in Loop: Header=BB2_40 Depth=2
	s_and_not1_saveexec_b32 s51, s51
	s_cbranch_execz .LBB2_39
; %bb.47:                               ;   in Loop: Header=BB2_40 Depth=2
	s_mov_b32 s53, exec_lo
	s_mov_b32 s52, exec_lo
	v_mbcnt_lo_u32_b32 v6, s53, 0
                                        ; implicit-def: $vgpr7
	s_delay_alu instid0(VALU_DEP_1)
	v_cmpx_eq_u32_e32 0, v6
	s_cbranch_execz .LBB2_38
; %bb.48:                               ;   in Loop: Header=BB2_40 Depth=2
	s_bcnt1_i32_b32 s53, s53
	s_delay_alu instid0(SALU_CYCLE_1)
	v_mov_b32_e32 v7, s53
	ds_add_rtn_u32 v7, v12, v7 offset:128
	s_branch .LBB2_38
.LBB2_49:                               ;   in Loop: Header=BB2_14 Depth=1
	s_mov_b32 s36, 0
	s_branch .LBB2_75
.LBB2_50:                               ;   in Loop: Header=BB2_14 Depth=1
	s_or_b32 exec_lo, exec_lo, s48
	s_cbranch_execz .LBB2_53
	s_branch .LBB2_67
.LBB2_51:                               ;   in Loop: Header=BB2_14 Depth=1
	s_branch .LBB2_68
.LBB2_52:                               ;   in Loop: Header=BB2_14 Depth=1
.LBB2_53:                               ;   in Loop: Header=BB2_14 Depth=1
	s_and_saveexec_b32 s38, s5
	s_cbranch_execz .LBB2_66
; %bb.54:                               ;   in Loop: Header=BB2_14 Depth=1
	v_mov_b32_e32 v2, v0
	s_lshl_b32 s5, -1, s47
	s_mov_b32 s39, 0
	s_branch .LBB2_57
.LBB2_55:                               ;   in Loop: Header=BB2_57 Depth=2
	s_or_b32 exec_lo, exec_lo, s49
	s_wait_dscnt 0x0
	v_readfirstlane_b32 s49, v6
	s_delay_alu instid0(VALU_DEP_1) | instskip(NEXT) | instid1(VALU_DEP_1)
	v_dual_add_nc_u32 v5, s49, v5 :: v_dual_bitop2_b32 v4, v4, v3 bitop3:0x14
	v_lshrrev_b32_e32 v4, s20, v4
	s_clause 0x1
	global_store_b32 v5, v3, s[36:37] scale_offset
	global_store_b32 v5, v2, s[14:15] scale_offset
	v_and_b32_e32 v4, s45, v4
	s_delay_alu instid0(VALU_DEP_1)
	v_lshlrev_b32_e32 v4, 2, v4
	ds_add_u32 v4, v22 offset:640
.LBB2_56:                               ;   in Loop: Header=BB2_57 Depth=2
	s_wait_xcnt 0x0
	s_or_b32 exec_lo, exec_lo, s48
	v_add_nc_u32_e32 v2, s11, v2
	s_delay_alu instid0(VALU_DEP_1) | instskip(SKIP_1) | instid1(SALU_CYCLE_1)
	v_cmp_le_i32_e32 vcc_lo, s46, v2
	s_or_b32 s39, vcc_lo, s39
	s_and_not1_b32 exec_lo, exec_lo, s39
	s_cbranch_execz .LBB2_66
.LBB2_57:                               ;   Parent Loop BB2_14 Depth=1
                                        ; =>  This Inner Loop Header: Depth=2
	global_load_b32 v3, v2, s[34:35] scale_offset
	s_mov_b32 s48, exec_lo
	s_wait_loadcnt 0x0
	v_cmp_gt_f32_e32 vcc_lo, 0, v3
	v_cndmask_b32_e64 v4, 0x7fffffff, 0, vcc_lo
	s_delay_alu instid0(VALU_DEP_1) | instskip(SKIP_2) | instid1(VALU_DEP_1)
	v_bitop3_b32 v5, v4, s5, v3 bitop3:0x48
	s_wait_dscnt 0x0
	s_wait_xcnt 0x0
	v_cmpx_ne_u32_e64 v5, v1
	s_xor_b32 s48, exec_lo, s48
	s_cbranch_execz .LBB2_63
; %bb.58:                               ;   in Loop: Header=BB2_57 Depth=2
	s_mov_b32 s49, exec_lo
	v_cmpx_lt_u32_e64 v5, v1
	s_cbranch_execz .LBB2_62
; %bb.59:                               ;   in Loop: Header=BB2_57 Depth=2
	s_mov_b32 s51, exec_lo
	s_mov_b32 s50, exec_lo
	v_mbcnt_lo_u32_b32 v4, s51, 0
                                        ; implicit-def: $vgpr5
	s_delay_alu instid0(VALU_DEP_1)
	v_cmpx_eq_u32_e32 0, v4
; %bb.60:                               ;   in Loop: Header=BB2_57 Depth=2
	s_bcnt1_i32_b32 s51, s51
	s_delay_alu instid0(SALU_CYCLE_1)
	v_mov_b32_e32 v5, s51
	ds_add_rtn_u32 v5, v12, v5 offset:384
; %bb.61:                               ;   in Loop: Header=BB2_57 Depth=2
	s_or_b32 exec_lo, exec_lo, s50
	s_wait_dscnt 0x0
	v_readfirstlane_b32 s50, v5
	s_delay_alu instid0(VALU_DEP_1)
	v_add_nc_u32_e32 v4, s50, v4
	s_clause 0x1
	global_store_b32 v4, v3, s[6:7] scale_offset
	global_store_b32 v4, v2, s[8:9] scale_offset
.LBB2_62:                               ;   in Loop: Header=BB2_57 Depth=2
	s_wait_xcnt 0x0
	s_or_b32 exec_lo, exec_lo, s49
                                        ; implicit-def: $vgpr4
                                        ; implicit-def: $vgpr3
.LBB2_63:                               ;   in Loop: Header=BB2_57 Depth=2
	s_and_not1_saveexec_b32 s48, s48
	s_cbranch_execz .LBB2_56
; %bb.64:                               ;   in Loop: Header=BB2_57 Depth=2
	s_mov_b32 s50, exec_lo
	s_mov_b32 s49, exec_lo
	v_mbcnt_lo_u32_b32 v5, s50, 0
                                        ; implicit-def: $vgpr6
	s_delay_alu instid0(VALU_DEP_1)
	v_cmpx_eq_u32_e32 0, v5
	s_cbranch_execz .LBB2_55
; %bb.65:                               ;   in Loop: Header=BB2_57 Depth=2
	s_bcnt1_i32_b32 s50, s50
	s_delay_alu instid0(SALU_CYCLE_1)
	v_mov_b32_e32 v6, s50
	ds_add_rtn_u32 v6, v12, v6 offset:128
	s_branch .LBB2_55
.LBB2_66:                               ;   in Loop: Header=BB2_14 Depth=1
	s_or_b32 exec_lo, exec_lo, s38
.LBB2_67:                               ;   in Loop: Header=BB2_14 Depth=1
	s_cbranch_execnz .LBB2_74
.LBB2_68:                               ;   in Loop: Header=BB2_14 Depth=1
	s_mov_b32 s5, exec_lo
	v_cmpx_gt_i32_e64 s46, v0
	s_cbranch_execz .LBB2_73
; %bb.69:                               ;   in Loop: Header=BB2_14 Depth=1
	v_mov_b32_e32 v2, v0
	s_lshl_b32 s36, -1, s47
	s_mov_b32 s37, 0
	s_branch .LBB2_71
.LBB2_70:                               ;   in Loop: Header=BB2_71 Depth=2
	s_or_b32 exec_lo, exec_lo, s38
	v_add_nc_u32_e32 v2, s11, v2
	s_delay_alu instid0(VALU_DEP_1) | instskip(SKIP_1) | instid1(SALU_CYCLE_1)
	v_cmp_le_i32_e32 vcc_lo, s46, v2
	s_or_b32 s37, vcc_lo, s37
	s_and_not1_b32 exec_lo, exec_lo, s37
	s_cbranch_execz .LBB2_73
.LBB2_71:                               ;   Parent Loop BB2_14 Depth=1
                                        ; =>  This Inner Loop Header: Depth=2
	global_load_b32 v3, v2, s[34:35] scale_offset
	s_mov_b32 s38, exec_lo
	s_wait_loadcnt 0x0
	v_cmp_gt_f32_e32 vcc_lo, 0, v3
	v_cndmask_b32_e64 v4, 0x7fffffff, 0, vcc_lo
	s_delay_alu instid0(VALU_DEP_1) | instskip(SKIP_2) | instid1(VALU_DEP_1)
	v_bitop3_b32 v5, v4, s36, v3 bitop3:0x48
	s_wait_dscnt 0x0
	s_wait_xcnt 0x0
	v_cmpx_eq_u32_e64 v5, v1
	s_cbranch_execz .LBB2_70
; %bb.72:                               ;   in Loop: Header=BB2_71 Depth=2
	v_xor_b32_e32 v3, v4, v3
	s_delay_alu instid0(VALU_DEP_1) | instskip(NEXT) | instid1(VALU_DEP_1)
	v_lshrrev_b32_e32 v3, s20, v3
	v_and_b32_e32 v3, s45, v3
	s_delay_alu instid0(VALU_DEP_1)
	v_lshlrev_b32_e32 v3, 2, v3
	ds_add_u32 v3, v22 offset:640
	s_branch .LBB2_70
.LBB2_73:                               ;   in Loop: Header=BB2_14 Depth=1
	s_or_b32 exec_lo, exec_lo, s5
.LBB2_74:                               ;   in Loop: Header=BB2_14 Depth=1
	s_mov_b32 s36, 0
	s_cbranch_execnz .LBB2_133
.LBB2_75:                               ;   in Loop: Header=BB2_14 Depth=1
	s_and_b64 s[36:37], s[34:35], 15
	s_wait_dscnt 0x0
	v_dual_mov_b32 v1, 0xff7fffff :: v_dual_mov_b32 v8, 0
	s_sub_co_i32 s5, 16, s36
	v_dual_mov_b32 v6, 0x7f7fffff :: v_dual_mov_b32 v7, -1
	s_lshr_b32 s5, s5, 2
	s_cmp_lg_u64 s[36:37], 0
	s_mov_b32 s48, 0
	s_cselect_b32 s5, s5, 0
	s_mov_b32 s47, exec_lo
	s_min_i32 s36, s5, s46
                                        ; implicit-def: $vgpr5
	s_delay_alu instid0(SALU_CYCLE_1) | instskip(NEXT) | instid1(SALU_CYCLE_1)
	s_sub_co_i32 s5, s46, s36
	s_ashr_i32 s37, s5, 31
	s_delay_alu instid0(SALU_CYCLE_1) | instskip(NEXT) | instid1(SALU_CYCLE_1)
	s_lshr_b32 s37, s37, 30
	s_add_co_i32 s5, s5, s37
	s_delay_alu instid0(SALU_CYCLE_1) | instskip(NEXT) | instid1(SALU_CYCLE_1)
	s_ashr_i32 s5, s5, 2
	v_cmpx_gt_i32_e64 s5, v0
	s_cbranch_execz .LBB2_103
; %bb.76:                               ;   in Loop: Header=BB2_14 Depth=1
	s_ashr_i32 s37, s36, 31
	v_dual_mov_b32 v7, -1 :: v_dual_mov_b32 v6, 0x7f7fffff
	v_dual_mov_b32 v1, 0xff7fffff :: v_dual_mov_b32 v8, 0
	v_mov_b32_e32 v26, v0
	s_lshl_b64 s[38:39], s[36:37], 2
	s_delay_alu instid0(SALU_CYCLE_1)
	s_add_nc_u64 s[38:39], s[34:35], s[38:39]
	s_branch .LBB2_78
.LBB2_77:                               ;   in Loop: Header=BB2_78 Depth=2
	s_or_b32 exec_lo, exec_lo, s37
	v_and_b32_e32 v27, 0x7ff, v29
	v_min3_num_f32 v6, v6, v2, v3
	v_max3_num_f32 v1, v1, v2, v3
	s_delay_alu instid0(VALU_DEP_3) | instskip(NEXT) | instid1(VALU_DEP_3)
	v_dual_add_nc_u32 v26, s11, v26 :: v_dual_lshlrev_b32 v27, 2, v27
	v_min3_num_f32 v6, v6, v4, v5
	s_delay_alu instid0(VALU_DEP_3) | instskip(NEXT) | instid1(VALU_DEP_3)
	v_max3_num_f32 v1, v1, v4, v5
	v_cmp_le_i32_e32 vcc_lo, s5, v26
	ds_add_u32 v27, v22 offset:8832
	s_or_b32 s48, vcc_lo, s48
	s_delay_alu instid0(SALU_CYCLE_1)
	s_and_not1_b32 exec_lo, exec_lo, s48
	s_cbranch_execz .LBB2_102
.LBB2_78:                               ;   Parent Loop BB2_14 Depth=1
                                        ; =>  This Inner Loop Header: Depth=2
	global_load_b128 v[2:5], v26, s[38:39] scale_offset
	s_mov_b32 s37, exec_lo
	s_wait_loadcnt 0x0
	v_cmp_gt_f32_e32 vcc_lo, 0, v2
	v_cndmask_b32_e64 v27, 0x7fffffff, 0, vcc_lo
	s_delay_alu instid0(VALU_DEP_1) | instskip(NEXT) | instid1(VALU_DEP_1)
	v_xor_b32_e32 v29, v27, v2
	v_lshrrev_b32_e32 v27, s20, v29
	s_delay_alu instid0(VALU_DEP_1) | instskip(SKIP_1) | instid1(VALU_DEP_1)
	v_and_b32_e32 v27, s45, v27
	s_wait_xcnt 0x0
	v_cmpx_ne_u32_e64 v27, v7
	s_xor_b32 s37, exec_lo, s37
	s_cbranch_execz .LBB2_82
; %bb.79:                               ;   in Loop: Header=BB2_78 Depth=2
	s_mov_b32 s49, exec_lo
	v_cmpx_lt_i32_e32 0, v8
; %bb.80:                               ;   in Loop: Header=BB2_78 Depth=2
	v_lshlrev_b32_e32 v7, 2, v7
	ds_add_u32 v7, v8 offset:640
; %bb.81:                               ;   in Loop: Header=BB2_78 Depth=2
	s_or_b32 exec_lo, exec_lo, s49
                                        ; implicit-def: $vgpr8
                                        ; implicit-def: $vgpr7
.LBB2_82:                               ;   in Loop: Header=BB2_78 Depth=2
	s_or_saveexec_b32 s37, s37
	v_mov_b32_e32 v28, 1
	s_xor_b32 exec_lo, exec_lo, s37
; %bb.83:                               ;   in Loop: Header=BB2_78 Depth=2
	v_dual_mov_b32 v27, v7 :: v_dual_add_nc_u32 v28, 1, v8
; %bb.84:                               ;   in Loop: Header=BB2_78 Depth=2
	s_or_b32 exec_lo, exec_lo, s37
	v_and_b32_e32 v7, 0x7ff, v29
	v_cmp_gt_f32_e32 vcc_lo, 0, v3
	s_mov_b32 s37, exec_lo
	s_delay_alu instid0(VALU_DEP_2) | instskip(SKIP_3) | instid1(VALU_DEP_1)
	v_lshlrev_b32_e32 v7, 2, v7
	v_cndmask_b32_e64 v8, 0x7fffffff, 0, vcc_lo
	ds_add_u32 v7, v22 offset:8832
	v_xor_b32_e32 v29, v8, v3
	v_lshrrev_b32_e32 v7, s20, v29
	s_delay_alu instid0(VALU_DEP_1) | instskip(NEXT) | instid1(VALU_DEP_1)
	v_and_b32_e32 v7, s45, v7
	v_cmpx_ne_u32_e64 v7, v27
	s_xor_b32 s37, exec_lo, s37
	s_cbranch_execz .LBB2_88
; %bb.85:                               ;   in Loop: Header=BB2_78 Depth=2
	s_mov_b32 s49, exec_lo
	v_cmpx_lt_i32_e32 0, v28
; %bb.86:                               ;   in Loop: Header=BB2_78 Depth=2
	v_lshlrev_b32_e32 v8, 2, v27
	ds_add_u32 v8, v28 offset:640
; %bb.87:                               ;   in Loop: Header=BB2_78 Depth=2
	s_or_b32 exec_lo, exec_lo, s49
                                        ; implicit-def: $vgpr28
                                        ; implicit-def: $vgpr27
.LBB2_88:                               ;   in Loop: Header=BB2_78 Depth=2
	s_or_saveexec_b32 s37, s37
	v_mov_b32_e32 v8, 1
	s_xor_b32 exec_lo, exec_lo, s37
; %bb.89:                               ;   in Loop: Header=BB2_78 Depth=2
	v_dual_mov_b32 v7, v27 :: v_dual_add_nc_u32 v8, 1, v28
; %bb.90:                               ;   in Loop: Header=BB2_78 Depth=2
	s_or_b32 exec_lo, exec_lo, s37
	v_and_b32_e32 v27, 0x7ff, v29
	v_cmp_gt_f32_e32 vcc_lo, 0, v4
	s_mov_b32 s37, exec_lo
	v_cndmask_b32_e64 v28, 0x7fffffff, 0, vcc_lo
	s_delay_alu instid0(VALU_DEP_1) | instskip(SKIP_2) | instid1(VALU_DEP_1)
	v_dual_lshlrev_b32 v27, 2, v27 :: v_dual_bitop2_b32 v29, v28, v4 bitop3:0x14
	ds_add_u32 v27, v22 offset:8832
	v_lshrrev_b32_e32 v27, s20, v29
	v_and_b32_e32 v27, s45, v27
	s_delay_alu instid0(VALU_DEP_1)
	v_cmpx_ne_u32_e64 v27, v7
	s_xor_b32 s37, exec_lo, s37
	s_cbranch_execz .LBB2_94
; %bb.91:                               ;   in Loop: Header=BB2_78 Depth=2
	s_mov_b32 s49, exec_lo
	v_cmpx_lt_i32_e32 0, v8
; %bb.92:                               ;   in Loop: Header=BB2_78 Depth=2
	v_lshlrev_b32_e32 v7, 2, v7
	ds_add_u32 v7, v8 offset:640
; %bb.93:                               ;   in Loop: Header=BB2_78 Depth=2
	s_or_b32 exec_lo, exec_lo, s49
                                        ; implicit-def: $vgpr8
                                        ; implicit-def: $vgpr7
.LBB2_94:                               ;   in Loop: Header=BB2_78 Depth=2
	s_or_saveexec_b32 s37, s37
	v_mov_b32_e32 v28, 1
	s_xor_b32 exec_lo, exec_lo, s37
; %bb.95:                               ;   in Loop: Header=BB2_78 Depth=2
	v_dual_mov_b32 v27, v7 :: v_dual_add_nc_u32 v28, 1, v8
; %bb.96:                               ;   in Loop: Header=BB2_78 Depth=2
	s_or_b32 exec_lo, exec_lo, s37
	v_and_b32_e32 v7, 0x7ff, v29
	v_cmp_gt_f32_e32 vcc_lo, 0, v5
	s_mov_b32 s37, exec_lo
	v_cndmask_b32_e64 v8, 0x7fffffff, 0, vcc_lo
	s_delay_alu instid0(VALU_DEP_1) | instskip(SKIP_2) | instid1(VALU_DEP_1)
	v_dual_lshlrev_b32 v7, 2, v7 :: v_dual_bitop2_b32 v29, v8, v5 bitop3:0x14
	ds_add_u32 v7, v22 offset:8832
	v_lshrrev_b32_e32 v7, s20, v29
	v_and_b32_e32 v7, s45, v7
	s_delay_alu instid0(VALU_DEP_1)
	v_cmpx_ne_u32_e64 v7, v27
	s_xor_b32 s37, exec_lo, s37
	s_cbranch_execz .LBB2_100
; %bb.97:                               ;   in Loop: Header=BB2_78 Depth=2
	s_mov_b32 s49, exec_lo
	v_cmpx_lt_i32_e32 0, v28
; %bb.98:                               ;   in Loop: Header=BB2_78 Depth=2
	v_lshlrev_b32_e32 v8, 2, v27
	ds_add_u32 v8, v28 offset:640
; %bb.99:                               ;   in Loop: Header=BB2_78 Depth=2
	s_or_b32 exec_lo, exec_lo, s49
                                        ; implicit-def: $vgpr28
                                        ; implicit-def: $vgpr27
.LBB2_100:                              ;   in Loop: Header=BB2_78 Depth=2
	s_or_saveexec_b32 s37, s37
	v_mov_b32_e32 v8, 1
	s_xor_b32 exec_lo, exec_lo, s37
	s_cbranch_execz .LBB2_77
; %bb.101:                              ;   in Loop: Header=BB2_78 Depth=2
	v_dual_mov_b32 v7, v27 :: v_dual_add_nc_u32 v8, 1, v28
	s_branch .LBB2_77
.LBB2_102:                              ;   in Loop: Header=BB2_14 Depth=1
	s_or_b32 exec_lo, exec_lo, s48
.LBB2_103:                              ;   in Loop: Header=BB2_14 Depth=1
	s_delay_alu instid0(SALU_CYCLE_1) | instskip(NEXT) | instid1(SALU_CYCLE_1)
	s_or_b32 exec_lo, exec_lo, s47
	s_mov_b32 s37, exec_lo
	v_cmpx_gt_u32_e64 s36, v0
	s_cbranch_execz .LBB2_111
; %bb.104:                              ;   in Loop: Header=BB2_14 Depth=1
	global_load_b32 v5, v0, s[34:35] scale_offset
	s_mov_b32 s38, exec_lo
	s_wait_loadcnt 0x0
	v_cmp_gt_f32_e32 vcc_lo, 0, v5
	v_cndmask_b32_e64 v2, 0x7fffffff, 0, vcc_lo
	s_delay_alu instid0(VALU_DEP_1) | instskip(NEXT) | instid1(VALU_DEP_1)
	v_xor_b32_e32 v3, v2, v5
	v_lshrrev_b32_e32 v2, s20, v3
	s_delay_alu instid0(VALU_DEP_1) | instskip(SKIP_1) | instid1(VALU_DEP_1)
	v_and_b32_e32 v2, s45, v2
	s_wait_xcnt 0x0
	v_cmpx_ne_u32_e64 v2, v7
	s_xor_b32 s38, exec_lo, s38
	s_cbranch_execz .LBB2_108
; %bb.105:                              ;   in Loop: Header=BB2_14 Depth=1
	s_mov_b32 s39, exec_lo
	v_cmpx_lt_i32_e32 0, v8
; %bb.106:                              ;   in Loop: Header=BB2_14 Depth=1
	v_lshlrev_b32_e32 v4, 2, v7
	ds_add_u32 v4, v8 offset:640
; %bb.107:                              ;   in Loop: Header=BB2_14 Depth=1
	s_or_b32 exec_lo, exec_lo, s39
                                        ; implicit-def: $vgpr8
                                        ; implicit-def: $vgpr7
.LBB2_108:                              ;   in Loop: Header=BB2_14 Depth=1
	s_or_saveexec_b32 s38, s38
	v_mov_b32_e32 v4, 1
	s_xor_b32 exec_lo, exec_lo, s38
; %bb.109:                              ;   in Loop: Header=BB2_14 Depth=1
	v_dual_add_nc_u32 v4, 1, v8 :: v_dual_mov_b32 v2, v7
; %bb.110:                              ;   in Loop: Header=BB2_14 Depth=1
	s_or_b32 exec_lo, exec_lo, s38
	v_and_b32_e32 v3, 0x7ff, v3
	v_max_num_f32_e32 v7, v5, v5
	s_delay_alu instid0(VALU_DEP_3) | instskip(NEXT) | instid1(VALU_DEP_3)
	v_dual_max_num_f32 v1, v1, v1 :: v_dual_mov_b32 v8, v4
	v_lshlrev_b32_e32 v3, 2, v3
	s_delay_alu instid0(VALU_DEP_2) | instskip(SKIP_2) | instid1(VALU_DEP_1)
	v_max_num_f32_e32 v1, v1, v7
	ds_add_u32 v3, v22 offset:8832
	v_max_num_f32_e32 v3, v6, v6
	v_dual_min_num_f32 v6, v3, v7 :: v_dual_mov_b32 v7, v2
.LBB2_111:                              ;   in Loop: Header=BB2_14 Depth=1
	s_or_b32 exec_lo, exec_lo, s37
	s_lshl_b32 s5, s5, 2
	s_delay_alu instid0(SALU_CYCLE_1) | instskip(SKIP_1) | instid1(VALU_DEP_1)
	v_add3_u32 v2, s5, s36, v0
	s_mov_b32 s5, exec_lo
	v_cmpx_gt_i32_e64 s46, v2
	s_cbranch_execz .LBB2_119
; %bb.112:                              ;   in Loop: Header=BB2_14 Depth=1
	global_load_b32 v5, v2, s[34:35] scale_offset
	s_wait_xcnt 0x0
	s_mov_b32 s34, exec_lo
	s_wait_loadcnt 0x0
	v_cmp_gt_f32_e32 vcc_lo, 0, v5
	v_cndmask_b32_e64 v2, 0x7fffffff, 0, vcc_lo
	s_delay_alu instid0(VALU_DEP_1) | instskip(NEXT) | instid1(VALU_DEP_1)
	v_xor_b32_e32 v3, v2, v5
	v_lshrrev_b32_e32 v2, s20, v3
	s_delay_alu instid0(VALU_DEP_1) | instskip(NEXT) | instid1(VALU_DEP_1)
	v_and_b32_e32 v2, s45, v2
	v_cmpx_ne_u32_e64 v2, v7
	s_xor_b32 s34, exec_lo, s34
	s_cbranch_execz .LBB2_116
; %bb.113:                              ;   in Loop: Header=BB2_14 Depth=1
	s_mov_b32 s35, exec_lo
	v_cmpx_lt_i32_e32 0, v8
; %bb.114:                              ;   in Loop: Header=BB2_14 Depth=1
	v_lshlrev_b32_e32 v4, 2, v7
	ds_add_u32 v4, v8 offset:640
; %bb.115:                              ;   in Loop: Header=BB2_14 Depth=1
	s_or_b32 exec_lo, exec_lo, s35
                                        ; implicit-def: $vgpr8
                                        ; implicit-def: $vgpr7
.LBB2_116:                              ;   in Loop: Header=BB2_14 Depth=1
	s_or_saveexec_b32 s34, s34
	v_mov_b32_e32 v4, 1
	s_xor_b32 exec_lo, exec_lo, s34
; %bb.117:                              ;   in Loop: Header=BB2_14 Depth=1
	v_dual_add_nc_u32 v4, 1, v8 :: v_dual_mov_b32 v2, v7
; %bb.118:                              ;   in Loop: Header=BB2_14 Depth=1
	s_or_b32 exec_lo, exec_lo, s34
	v_and_b32_e32 v3, 0x7ff, v3
	v_max_num_f32_e32 v7, v5, v5
	s_delay_alu instid0(VALU_DEP_3) | instskip(NEXT) | instid1(VALU_DEP_3)
	v_dual_max_num_f32 v1, v1, v1 :: v_dual_mov_b32 v8, v4
	v_lshlrev_b32_e32 v3, 2, v3
	s_delay_alu instid0(VALU_DEP_2) | instskip(SKIP_2) | instid1(VALU_DEP_1)
	v_max_num_f32_e32 v1, v1, v7
	ds_add_u32 v3, v22 offset:8832
	v_max_num_f32_e32 v3, v6, v6
	v_dual_min_num_f32 v6, v3, v7 :: v_dual_mov_b32 v7, v2
.LBB2_119:                              ;   in Loop: Header=BB2_14 Depth=1
	s_or_b32 exec_lo, exec_lo, s5
	s_delay_alu instid0(SALU_CYCLE_1)
	s_mov_b32 s5, exec_lo
	v_cmpx_lt_i32_e32 0, v8
	s_cbranch_execz .LBB2_122
; %bb.120:                              ;   in Loop: Header=BB2_14 Depth=1
	v_cmp_lt_f32_e32 vcc_lo, 0, v5
	v_xor_b32_e32 v2, 0x80000000, v5
	v_cndmask_b32_e64 v3, 0x7fffffff, 0, vcc_lo
	s_delay_alu instid0(VALU_DEP_1) | instskip(NEXT) | instid1(VALU_DEP_1)
	v_xor_b32_e32 v2, v3, v2
	v_lshrrev_b32_e32 v2, s20, v2
	s_delay_alu instid0(VALU_DEP_1) | instskip(NEXT) | instid1(VALU_DEP_1)
	v_and_b32_e32 v2, s45, v2
	v_cmp_ne_u32_e32 vcc_lo, v2, v7
	s_and_b32 exec_lo, exec_lo, vcc_lo
; %bb.121:                              ;   in Loop: Header=BB2_14 Depth=1
	v_lshlrev_b32_e32 v2, 2, v7
	ds_add_u32 v2, v8 offset:640
.LBB2_122:                              ;   in Loop: Header=BB2_14 Depth=1
	s_or_b32 exec_lo, exec_lo, s5
	v_mov_b32_dpp v2, v6 quad_perm:[1,0,3,2] row_mask:0xf bank_mask:0xf
	s_delay_alu instid0(VALU_DEP_1) | instskip(SKIP_1) | instid1(VALU_DEP_1)
	v_cmp_lt_f32_e32 vcc_lo, v6, v2
	v_cndmask_b32_e32 v2, v2, v6, vcc_lo
	v_mov_b32_dpp v3, v2 quad_perm:[2,3,0,1] row_mask:0xf bank_mask:0xf
	s_delay_alu instid0(VALU_DEP_1) | instskip(SKIP_1) | instid1(VALU_DEP_1)
	v_cmp_lt_f32_e32 vcc_lo, v2, v3
	v_cndmask_b32_e32 v2, v3, v2, vcc_lo
	v_mov_b32_dpp v3, v2 row_ror:4 row_mask:0xf bank_mask:0xf
	s_delay_alu instid0(VALU_DEP_1) | instskip(SKIP_1) | instid1(VALU_DEP_1)
	v_cmp_lt_f32_e32 vcc_lo, v2, v3
	v_cndmask_b32_e32 v2, v3, v2, vcc_lo
	v_mov_b32_dpp v3, v2 row_ror:8 row_mask:0xf bank_mask:0xf
	s_delay_alu instid0(VALU_DEP_1)
	v_cmp_lt_f32_e32 vcc_lo, v2, v3
	v_cndmask_b32_e32 v2, v3, v2, vcc_lo
	ds_swizzle_b32 v3, v2 offset:swizzle(BROADCAST,32,15)
	s_wait_dscnt 0x0
	v_cmp_lt_f32_e32 vcc_lo, v2, v3
	v_cndmask_b32_e32 v2, v3, v2, vcc_lo
	v_cmp_eq_u32_e32 vcc_lo, 0, v24
	ds_bpermute_b32 v2, v12, v2 offset:124
	s_and_saveexec_b32 s5, vcc_lo
	s_cbranch_execz .LBB2_124
; %bb.123:                              ;   in Loop: Header=BB2_14 Depth=1
	s_wait_dscnt 0x0
	ds_store_b32 v13, v2
.LBB2_124:                              ;   in Loop: Header=BB2_14 Depth=1
	s_or_b32 exec_lo, exec_lo, s5
	v_lshlrev_b32_e32 v3, 2, v24
	s_wait_storecnt_dscnt 0x0
	s_barrier_signal -1
	s_barrier_wait -1
	s_and_saveexec_b32 s34, s0
	s_cbranch_execz .LBB2_126
; %bb.125:                              ;   in Loop: Header=BB2_14 Depth=1
	ds_load_b32 v2, v3 offset:25472
	s_wait_dscnt 0x0
	v_mov_b32_dpp v4, v2 quad_perm:[1,0,3,2] row_mask:0xf bank_mask:0xf
	s_delay_alu instid0(VALU_DEP_1) | instskip(NEXT) | instid1(VALU_DEP_1)
	v_cmp_lt_f32_e64 s5, v2, v4
	v_cndmask_b32_e64 v2, v4, v2, s5
	s_delay_alu instid0(VALU_DEP_1) | instskip(NEXT) | instid1(VALU_DEP_1)
	v_mov_b32_dpp v4, v2 quad_perm:[2,3,0,1] row_mask:0xf bank_mask:0xf
	v_cmp_lt_f32_e64 s5, v2, v4
	s_delay_alu instid0(VALU_DEP_1) | instskip(NEXT) | instid1(VALU_DEP_1)
	v_cndmask_b32_e64 v2, v4, v2, s5
	v_mov_b32_dpp v4, v2 row_ror:4 row_mask:0xf bank_mask:0xf
	s_delay_alu instid0(VALU_DEP_1) | instskip(NEXT) | instid1(VALU_DEP_1)
	v_cmp_lt_f32_e64 s5, v2, v4
	v_cndmask_b32_e64 v2, v4, v2, s5
	s_delay_alu instid0(VALU_DEP_1) | instskip(NEXT) | instid1(VALU_DEP_1)
	v_mov_b32_dpp v4, v2 row_ror:8 row_mask:0xf bank_mask:0xf
	v_cmp_lt_f32_e64 s5, v2, v4
	s_delay_alu instid0(VALU_DEP_1) | instskip(SKIP_3) | instid1(VALU_DEP_1)
	v_cndmask_b32_e64 v2, v4, v2, s5
	ds_swizzle_b32 v4, v2 offset:swizzle(BROADCAST,32,15)
	s_wait_dscnt 0x0
	v_cmp_lt_f32_e64 s5, v2, v4
	v_cndmask_b32_e64 v2, v4, v2, s5
	ds_bpermute_b32 v2, v23, v2
.LBB2_126:                              ;   in Loop: Header=BB2_14 Depth=1
	s_or_b32 exec_lo, exec_lo, s34
	v_mov_b32_dpp v4, v1 quad_perm:[1,0,3,2] row_mask:0xf bank_mask:0xf
	s_delay_alu instid0(VALU_DEP_1) | instskip(NEXT) | instid1(VALU_DEP_1)
	v_cmp_gt_f32_e64 s5, v1, v4
	v_cndmask_b32_e64 v1, v4, v1, s5
	s_delay_alu instid0(VALU_DEP_1) | instskip(NEXT) | instid1(VALU_DEP_1)
	v_mov_b32_dpp v4, v1 quad_perm:[2,3,0,1] row_mask:0xf bank_mask:0xf
	v_cmp_gt_f32_e64 s5, v1, v4
	s_delay_alu instid0(VALU_DEP_1) | instskip(NEXT) | instid1(VALU_DEP_1)
	v_cndmask_b32_e64 v1, v4, v1, s5
	v_mov_b32_dpp v4, v1 row_ror:4 row_mask:0xf bank_mask:0xf
	s_delay_alu instid0(VALU_DEP_1) | instskip(NEXT) | instid1(VALU_DEP_1)
	v_cmp_gt_f32_e64 s5, v1, v4
	v_cndmask_b32_e64 v1, v4, v1, s5
	s_delay_alu instid0(VALU_DEP_1) | instskip(NEXT) | instid1(VALU_DEP_1)
	v_mov_b32_dpp v4, v1 row_ror:8 row_mask:0xf bank_mask:0xf
	v_cmp_gt_f32_e64 s5, v1, v4
	s_delay_alu instid0(VALU_DEP_1) | instskip(SKIP_3) | instid1(VALU_DEP_1)
	v_cndmask_b32_e64 v1, v4, v1, s5
	ds_swizzle_b32 v4, v1 offset:swizzle(BROADCAST,32,15)
	s_wait_dscnt 0x0
	v_cmp_gt_f32_e64 s5, v1, v4
	v_cndmask_b32_e64 v1, v4, v1, s5
	ds_bpermute_b32 v1, v23, v1
	s_and_saveexec_b32 s5, vcc_lo
	s_cbranch_execz .LBB2_128
; %bb.127:                              ;   in Loop: Header=BB2_14 Depth=1
	s_wait_dscnt 0x0
	ds_store_b32 v13, v1
.LBB2_128:                              ;   in Loop: Header=BB2_14 Depth=1
	s_or_b32 exec_lo, exec_lo, s5
	s_wait_dscnt 0x0
	s_barrier_signal -1
	s_barrier_wait -1
	s_and_saveexec_b32 s5, s0
	s_cbranch_execz .LBB2_130
; %bb.129:                              ;   in Loop: Header=BB2_14 Depth=1
	ds_load_b32 v1, v3 offset:25472
	s_wait_dscnt 0x0
	v_mov_b32_dpp v3, v1 quad_perm:[1,0,3,2] row_mask:0xf bank_mask:0xf
	s_delay_alu instid0(VALU_DEP_1) | instskip(SKIP_1) | instid1(VALU_DEP_1)
	v_cmp_gt_f32_e32 vcc_lo, v1, v3
	v_cndmask_b32_e32 v1, v3, v1, vcc_lo
	v_mov_b32_dpp v3, v1 quad_perm:[2,3,0,1] row_mask:0xf bank_mask:0xf
	s_delay_alu instid0(VALU_DEP_1) | instskip(SKIP_1) | instid1(VALU_DEP_1)
	v_cmp_gt_f32_e32 vcc_lo, v1, v3
	v_cndmask_b32_e32 v1, v3, v1, vcc_lo
	v_mov_b32_dpp v3, v1 row_ror:4 row_mask:0xf bank_mask:0xf
	s_delay_alu instid0(VALU_DEP_1) | instskip(SKIP_1) | instid1(VALU_DEP_1)
	v_cmp_gt_f32_e32 vcc_lo, v1, v3
	v_cndmask_b32_e32 v1, v3, v1, vcc_lo
	v_mov_b32_dpp v3, v1 row_ror:8 row_mask:0xf bank_mask:0xf
	s_delay_alu instid0(VALU_DEP_1)
	v_cmp_gt_f32_e32 vcc_lo, v1, v3
	v_cndmask_b32_e32 v1, v3, v1, vcc_lo
	ds_swizzle_b32 v3, v1 offset:swizzle(BROADCAST,32,15)
	s_wait_dscnt 0x0
	v_cmp_gt_f32_e32 vcc_lo, v1, v3
	v_cndmask_b32_e32 v1, v3, v1, vcc_lo
	ds_bpermute_b32 v1, v23, v1
.LBB2_130:                              ;   in Loop: Header=BB2_14 Depth=1
	s_or_b32 exec_lo, exec_lo, s5
	s_and_saveexec_b32 s5, s3
	s_cbranch_execz .LBB2_132
; %bb.131:                              ;   in Loop: Header=BB2_14 Depth=1
	v_cmp_gt_f32_e32 vcc_lo, 0, v2
	v_cndmask_b32_e64 v3, 0x7ffff800, 0, vcc_lo
	s_wait_dscnt 0x0
	v_cmp_gt_f32_e32 vcc_lo, 0, v1
	v_cndmask_b32_e64 v4, 0x7ffff800, 0, vcc_lo
	s_delay_alu instid0(VALU_DEP_1) | instskip(NEXT) | instid1(VALU_DEP_1)
	v_xor_b32_e32 v3, v3, v4
	v_xor3_b32 v1, v3, v2, v1
	s_delay_alu instid0(VALU_DEP_1)
	v_cmp_gt_u32_e32 vcc_lo, 0x800, v1
	v_cndmask_b32_e64 v1, 0, 1, vcc_lo
	ds_store_b8 v12, v1 offset:25600
.LBB2_132:                              ;   in Loop: Header=BB2_14 Depth=1
	s_or_b32 exec_lo, exec_lo, s5
	s_wait_dscnt 0x0
	s_barrier_signal -1
	s_barrier_wait -1
	ds_load_u8 v1, v12 offset:25600
	s_wait_dscnt 0x0
	v_readfirstlane_b32 s5, v1
	s_bitcmp1_b32 s5, 0
	s_cselect_b32 s36, -1, 0
.LBB2_133:                              ;   in Loop: Header=BB2_14 Depth=1
	s_delay_alu instid0(SALU_CYCLE_1)
	s_and_b32 s5, s36, exec_lo
	s_cselect_b32 s5, 0x800, 0
	s_wait_storecnt_dscnt 0x0
	v_dual_mov_b32 v3, s21 :: v_dual_bitop2_b32 v1, s5, v0 bitop3:0x54
	s_barrier_signal -1
	s_barrier_wait -1
	s_delay_alu instid0(VALU_DEP_1) | instskip(NEXT) | instid1(VALU_DEP_1)
	v_dual_lshlrev_b32 v1, 2, v1 :: v_dual_mov_b32 v5, s21
	v_add_nc_u32_e32 v2, 0x280, v1
	v_add_nc_u32_e32 v4, 0x1280, v1
	flat_load_b32 v1, v[2:3] scope:SCOPE_SYS
	s_wait_loadcnt 0x0
	flat_load_b32 v6, v[4:5] scope:SCOPE_SYS
	s_wait_loadcnt_dscnt 0x1
	ds_store_b32 v10, v1
	s_wait_dscnt 0x1
	ds_store_b32 v11, v6 offset:4096
	s_wait_dscnt 0x0
	s_barrier_signal -1
	s_barrier_wait -1
	ds_load_2addr_b32 v[6:7], v25 offset1:1
	s_wait_dscnt 0x0
	s_barrier_signal -1
	s_barrier_wait -1
	v_add_nc_u32_e32 v1, v7, v6
	ds_store_b32 v10, v1
	s_wait_dscnt 0x0
	s_barrier_signal -1
	s_barrier_wait -1
	s_and_saveexec_b32 s34, s0
	s_cbranch_execz .LBB2_135
; %bb.134:                              ;   in Loop: Header=BB2_14 Depth=1
	ds_load_2addr_b32 v[26:27], v14 offset1:1
	ds_load_2addr_b32 v[28:29], v14 offset0:2 offset1:3
	ds_load_2addr_b32 v[30:31], v14 offset0:4 offset1:5
	;; [unrolled: 1-line block ×5, first 2 shown]
	s_wait_dscnt 0x5
	v_dual_add_nc_u32 v8, v27, v26 :: v_dual_bitop2_b32 v27, 15, v24 bitop3:0x40
	s_wait_dscnt 0x4
	s_delay_alu instid0(VALU_DEP_1)
	v_add3_u32 v8, v8, v28, v29
	ds_load_2addr_b32 v[28:29], v14 offset0:12 offset1:13
	v_cmp_ne_u32_e32 vcc_lo, 0, v27
	s_wait_dscnt 0x4
	v_add3_u32 v8, v8, v30, v31
	ds_load_2addr_b32 v[30:31], v14 offset0:14 offset1:15
	s_wait_dscnt 0x4
	v_add3_u32 v8, v8, v32, v33
	ds_load_2addr_b32 v[32:33], v14 offset0:16 offset1:17
	s_wait_dscnt 0x4
	v_add3_u32 v8, v8, v34, v35
	s_wait_dscnt 0x3
	s_delay_alu instid0(VALU_DEP_1)
	v_add3_u32 v8, v8, v36, v37
	ds_load_2addr_b32 v[34:35], v14 offset0:18 offset1:19
	ds_load_2addr_b32 v[36:37], v14 offset0:20 offset1:21
	s_wait_dscnt 0x4
	v_add3_u32 v8, v8, v28, v29
	ds_load_2addr_b32 v[28:29], v14 offset0:22 offset1:23
	s_wait_dscnt 0x4
	v_add3_u32 v8, v8, v30, v31
	;; [unrolled: 3-line block ×4, first 2 shown]
	s_wait_dscnt 0x3
	s_delay_alu instid0(VALU_DEP_1)
	v_add3_u32 v8, v8, v36, v37
	ds_load_2addr_b32 v[34:35], v14 offset0:28 offset1:29
	ds_load_2addr_b32 v[36:37], v14 offset0:30 offset1:31
	; wave barrier
	s_wait_dscnt 0x4
	v_add3_u32 v8, v8, v28, v29
	v_bfe_i32 v29, v24, 4, 1
	s_wait_dscnt 0x3
	s_delay_alu instid0(VALU_DEP_2) | instskip(SKIP_1) | instid1(VALU_DEP_1)
	v_add3_u32 v8, v8, v30, v31
	s_wait_dscnt 0x2
	v_add3_u32 v8, v8, v32, v33
	s_wait_dscnt 0x1
	s_delay_alu instid0(VALU_DEP_1) | instskip(SKIP_1) | instid1(VALU_DEP_1)
	v_add3_u32 v8, v8, v34, v35
	s_wait_dscnt 0x0
	v_add3_u32 v8, v8, v36, v37
	s_delay_alu instid0(VALU_DEP_1) | instskip(NEXT) | instid1(VALU_DEP_1)
	v_mov_b32_dpp v28, v8 row_shr:1 row_mask:0xf bank_mask:0xf
	v_cndmask_b32_e32 v28, 0, v28, vcc_lo
	v_cmp_lt_u32_e32 vcc_lo, 1, v27
	s_delay_alu instid0(VALU_DEP_2) | instskip(NEXT) | instid1(VALU_DEP_1)
	v_add_nc_u32_e32 v8, v28, v8
	v_mov_b32_dpp v28, v8 row_shr:2 row_mask:0xf bank_mask:0xf
	s_delay_alu instid0(VALU_DEP_1) | instskip(SKIP_1) | instid1(VALU_DEP_2)
	v_cndmask_b32_e32 v28, 0, v28, vcc_lo
	v_cmp_lt_u32_e32 vcc_lo, 3, v27
	v_add_nc_u32_e32 v8, v8, v28
	s_delay_alu instid0(VALU_DEP_1) | instskip(NEXT) | instid1(VALU_DEP_1)
	v_mov_b32_dpp v28, v8 row_shr:4 row_mask:0xf bank_mask:0xf
	v_cndmask_b32_e32 v28, 0, v28, vcc_lo
	v_cmp_lt_u32_e32 vcc_lo, 7, v27
	s_delay_alu instid0(VALU_DEP_2) | instskip(NEXT) | instid1(VALU_DEP_1)
	v_add_nc_u32_e32 v8, v8, v28
	v_mov_b32_dpp v28, v8 row_shr:8 row_mask:0xf bank_mask:0xf
	s_delay_alu instid0(VALU_DEP_1) | instskip(NEXT) | instid1(VALU_DEP_1)
	v_cndmask_b32_e32 v27, 0, v28, vcc_lo
	v_dual_add_nc_u32 v28, -1, v24 :: v_dual_add_nc_u32 v8, v8, v27
	s_delay_alu instid0(VALU_DEP_1) | instskip(SKIP_3) | instid1(VALU_DEP_1)
	v_cmp_gt_i32_e32 vcc_lo, 0, v28
	ds_swizzle_b32 v27, v8 offset:swizzle(BROADCAST,32,15)
	v_cndmask_b32_e32 v28, v28, v24, vcc_lo
	s_wait_dscnt 0x0
	v_dual_lshlrev_b32 v28, 2, v28 :: v_dual_bitop2_b32 v27, v29, v27 bitop3:0x40
	s_delay_alu instid0(VALU_DEP_1) | instskip(SKIP_3) | instid1(VALU_DEP_1)
	v_add_nc_u32_e32 v8, v8, v27
	ds_bpermute_b32 v8, v28, v8
	s_wait_dscnt 0x0
	v_add_nc_u32_e32 v8, v8, v26
	v_cndmask_b32_e64 v8, v8, v1, s3
	ds_store_b32 v14, v8
	; wave barrier
	ds_load_2addr_b32 v[26:27], v14 offset0:1 offset1:2
	ds_load_2addr_b32 v[28:29], v14 offset0:3 offset1:4
	;; [unrolled: 1-line block ×4, first 2 shown]
	s_wait_dscnt 0x3
	v_add_nc_u32_e32 v8, v26, v8
	s_delay_alu instid0(VALU_DEP_1) | instskip(SKIP_3) | instid1(VALU_DEP_1)
	v_add_nc_u32_e32 v34, v27, v8
	ds_load_2addr_b32 v[26:27], v14 offset0:9 offset1:10
	s_wait_dscnt 0x3
	v_add_nc_u32_e32 v35, v28, v34
	v_add_nc_u32_e32 v36, v29, v35
	ds_load_2addr_b32 v[28:29], v14 offset0:11 offset1:12
	s_wait_dscnt 0x3
	v_add_nc_u32_e32 v37, v30, v36
	s_delay_alu instid0(VALU_DEP_1) | instskip(SKIP_1) | instid1(VALU_DEP_1)
	v_add_nc_u32_e32 v38, v31, v37
	s_wait_dscnt 0x2
	v_add_nc_u32_e32 v39, v32, v38
	s_delay_alu instid0(VALU_DEP_1) | instskip(SKIP_4) | instid1(VALU_DEP_1)
	v_add_nc_u32_e32 v40, v33, v39
	ds_load_2addr_b32 v[30:31], v14 offset0:13 offset1:14
	ds_load_2addr_b32 v[32:33], v14 offset0:15 offset1:16
	s_wait_dscnt 0x3
	v_add_nc_u32_e32 v41, v26, v40
	v_add_nc_u32_e32 v42, v27, v41
	ds_load_2addr_b32 v[26:27], v14 offset0:17 offset1:18
	s_wait_dscnt 0x3
	v_add_nc_u32_e32 v43, v28, v42
	s_delay_alu instid0(VALU_DEP_1) | instskip(SKIP_3) | instid1(VALU_DEP_1)
	v_add_nc_u32_e32 v44, v29, v43
	ds_load_2addr_b32 v[28:29], v14 offset0:19 offset1:20
	s_wait_dscnt 0x3
	v_add_nc_u32_e32 v45, v30, v44
	v_add_nc_u32_e32 v46, v31, v45
	s_wait_dscnt 0x2
	s_delay_alu instid0(VALU_DEP_1) | instskip(NEXT) | instid1(VALU_DEP_1)
	v_add_nc_u32_e32 v47, v32, v46
	v_add_nc_u32_e32 v48, v33, v47
	ds_load_2addr_b32 v[30:31], v14 offset0:21 offset1:22
	ds_load_2addr_b32 v[32:33], v14 offset0:23 offset1:24
	s_wait_dscnt 0x3
	v_add_nc_u32_e32 v49, v26, v48
	s_delay_alu instid0(VALU_DEP_1) | instskip(SKIP_3) | instid1(VALU_DEP_1)
	v_add_nc_u32_e32 v50, v27, v49
	ds_load_2addr_b32 v[26:27], v14 offset0:25 offset1:26
	s_wait_dscnt 0x3
	v_add_nc_u32_e32 v51, v28, v50
	v_add_nc_u32_e32 v52, v29, v51
	ds_load_2addr_b32 v[28:29], v14 offset0:27 offset1:28
	s_wait_dscnt 0x3
	v_add_nc_u32_e32 v53, v30, v52
	s_delay_alu instid0(VALU_DEP_1)
	v_add_nc_u32_e32 v54, v31, v53
	ds_load_2addr_b32 v[30:31], v14 offset0:29 offset1:30
	ds_load_b32 v55, v14 offset:124
	ds_store_2addr_b32 v14, v8, v34 offset0:1 offset1:2
	ds_store_2addr_b32 v14, v35, v36 offset0:3 offset1:4
	;; [unrolled: 1-line block ×8, first 2 shown]
	s_wait_dscnt 0xc
	v_add_nc_u32_e32 v32, v32, v54
	s_delay_alu instid0(VALU_DEP_1) | instskip(SKIP_1) | instid1(VALU_DEP_1)
	v_add_nc_u32_e32 v33, v33, v32
	s_wait_dscnt 0xb
	v_add_nc_u32_e32 v26, v26, v33
	s_delay_alu instid0(VALU_DEP_1) | instskip(SKIP_1) | instid1(VALU_DEP_1)
	v_add_nc_u32_e32 v27, v27, v26
	;; [unrolled: 4-line block ×4, first 2 shown]
	s_wait_dscnt 0x8
	v_add_nc_u32_e32 v31, v55, v8
	ds_store_2addr_b32 v14, v49, v50 offset0:17 offset1:18
	ds_store_2addr_b32 v14, v51, v52 offset0:19 offset1:20
	;; [unrolled: 1-line block ×7, first 2 shown]
	ds_store_b32 v14, v31 offset:124
.LBB2_135:                              ;   in Loop: Header=BB2_14 Depth=1
	s_or_b32 exec_lo, exec_lo, s34
	v_mov_b32_e32 v8, v6
	s_wait_dscnt 0x0
	s_barrier_signal -1
	s_barrier_wait -1
	s_and_saveexec_b32 s34, s2
	s_cbranch_execz .LBB2_137
; %bb.136:                              ;   in Loop: Header=BB2_14 Depth=1
	ds_load_b32 v1, v15
	;;#ASMSTART
	;;#ASMEND
	s_wait_dscnt 0x0
	v_add_nc_u32_e32 v8, v1, v6
	s_delay_alu instid0(VALU_DEP_1)
	v_add_nc_u32_e32 v1, v8, v7
.LBB2_137:                              ;   in Loop: Header=BB2_14 Depth=1
	s_or_b32 exec_lo, exec_lo, s34
	s_barrier_signal -1
	s_barrier_wait -1
	ds_store_2addr_b32 v25, v8, v1 offset1:1
	s_wait_dscnt 0x0
	s_barrier_signal -1
	s_barrier_wait -1
	ds_load_b32 v1, v10
	ds_load_b32 v6, v11 offset:4096
	s_and_b32 s34, s36, exec_lo
	s_cselect_b32 s34, 3, 0
	s_wait_dscnt 0x1
	flat_store_b32 v[2:3], v1 scope:SCOPE_SYS
	s_wait_storecnt_dscnt 0x1
	flat_store_b32 v[4:5], v6 scope:SCOPE_SYS
	s_wait_storecnt_dscnt 0x0
	s_barrier_signal -1
	s_barrier_wait -1
	s_wait_xcnt 0x1
	ds_load_b32 v1, v12 offset:12
	s_add_co_i32 s34, s34, s23
	v_lshl_add_u32 v2, s5, 2, v20
	s_mul_i32 s34, s34, -11
	v_mov_b32_e32 v3, v0
	s_max_i32 s35, s34, 0xffffffeb
	s_mov_b32 s34, 0
	s_add_co_i32 s35, s35, 21
	s_branch .LBB2_139
.LBB2_138:                              ;   in Loop: Header=BB2_139 Depth=2
	s_or_b32 exec_lo, exec_lo, s5
	v_dual_add_nc_u32 v3, s11, v3 :: v_dual_add_nc_u32 v2, s43, v2
	s_delay_alu instid0(VALU_DEP_1) | instskip(SKIP_1) | instid1(SALU_CYCLE_1)
	v_cmp_lt_u32_e32 vcc_lo, 0x7ff, v3
	s_or_b32 s34, vcc_lo, s34
	s_and_not1_b32 exec_lo, exec_lo, s34
	s_cbranch_execz .LBB2_143
.LBB2_139:                              ;   Parent Loop BB2_14 Depth=1
                                        ; =>  This Inner Loop Header: Depth=2
	s_wait_xcnt 0x0
	v_mov_b32_e32 v4, 0
	s_mov_b32 s5, exec_lo
	v_cmpx_ne_u32_e32 0, v3
; %bb.140:                              ;   in Loop: Header=BB2_139 Depth=2
	ds_load_b32 v4, v2
; %bb.141:                              ;   in Loop: Header=BB2_139 Depth=2
	s_or_b32 exec_lo, exec_lo, s5
	ds_load_b32 v5, v2 offset:4
	s_wait_dscnt 0x1
	v_cmp_gt_i32_e32 vcc_lo, s44, v4
	s_wait_dscnt 0x0
	v_cmp_le_i32_e64 s5, s44, v5
	s_and_b32 s37, vcc_lo, s5
	s_delay_alu instid0(SALU_CYCLE_1)
	s_and_saveexec_b32 s5, s37
	s_cbranch_execz .LBB2_138
; %bb.142:                              ;   in Loop: Header=BB2_139 Depth=2
	v_dual_sub_nc_u32 v5, v5, v4 :: v_dual_sub_nc_u32 v4, s44, v4
	v_lshl_or_b32 v1, v3, s35, v1
	ds_store_b64 v12, v[4:5]
	ds_store_b32 v12, v1 offset:12
	s_branch .LBB2_138
.LBB2_143:                              ;   in Loop: Header=BB2_14 Depth=1
	s_or_b32 exec_lo, exec_lo, s34
	s_and_saveexec_b32 s5, s3
; %bb.144:                              ;   in Loop: Header=BB2_14 Depth=1
	v_mov_b32_e32 v1, s40
	ds_store_b32 v12, v1 offset:8
; %bb.145:                              ;   in Loop: Header=BB2_14 Depth=1
	s_or_b32 exec_lo, exec_lo, s5
	s_cmp_lg_u32 s23, 2
	s_wait_dscnt 0x0
	s_cselect_b32 s5, -1, 0
	s_xor_b32 s34, s36, -1
	s_barrier_signal -1
	s_and_b32 s34, s5, s34
	s_mov_b32 s5, -1
	s_and_b32 vcc_lo, exec_lo, s34
	s_mov_b32 s34, -1
	s_barrier_wait -1
                                        ; implicit-def: $vgpr3
	s_cbranch_vccz .LBB2_13
; %bb.146:                              ;   in Loop: Header=BB2_14 Depth=1
	ds_load_b64 v[2:3], v12
	s_add_co_i32 s23, s23, 1
	s_mov_b32 s5, 0
	s_wait_dscnt 0x0
	v_cmp_eq_u32_e64 s34, v3, v2
	s_branch .LBB2_13
.LBB2_147:
	s_and_not1_b32 vcc_lo, exec_lo, s5
	s_mov_b32 s0, -1
	s_cbranch_vccz .LBB2_181
; %bb.148:
	v_mov_b32_e32 v1, 0
	s_and_b32 s0, s41, exec_lo
	s_cselect_b32 s0, 0, s14
	s_cselect_b32 s1, 0, s15
	s_cmp_eq_u64 s[18:19], 0
	ds_load_b32 v1, v1 offset:12
	s_cselect_b32 s5, s13, s1
	s_cselect_b32 s1, s33, s40
	;; [unrolled: 1-line block ×3, first 2 shown]
	v_cmp_gt_i32_e64 s0, s1, v0
	s_cselect_b32 s3, s17, s19
	s_cselect_b32 s2, s16, s18
	s_cmp_eq_u64 s[4:5], 0
	s_cbranch_scc1 .LBB2_164
; %bb.149:
	s_and_saveexec_b32 s21, s0
	s_cbranch_execz .LBB2_163
; %bb.150:
	v_dual_mov_b32 v2, 0 :: v_dual_mov_b32 v4, v0
	s_lshl_b32 s22, -1, s20
	s_mov_b32 s23, 0
	s_branch .LBB2_153
.LBB2_151:                              ;   in Loop: Header=BB2_153 Depth=1
	s_or_b32 exec_lo, exec_lo, s25
	v_lshl_add_u64 v[10:11], v[4:5], 2, s[4:5]
	s_wait_dscnt 0x0
	v_readfirstlane_b32 s25, v8
	global_load_b32 v5, v[10:11], off
	v_add_nc_u32_e32 v7, s25, v7
	global_store_b32 v7, v6, s[6:7] scale_offset
	s_wait_loadcnt 0x0
	global_store_b32 v7, v5, s[8:9] scale_offset
.LBB2_152:                              ;   in Loop: Header=BB2_153 Depth=1
	s_wait_xcnt 0x0
	s_or_b32 exec_lo, exec_lo, s24
	v_add_nc_u32_e32 v4, s11, v4
	s_delay_alu instid0(VALU_DEP_1) | instskip(SKIP_1) | instid1(SALU_CYCLE_1)
	v_cmp_le_i32_e32 vcc_lo, s1, v4
	s_or_b32 s23, vcc_lo, s23
	s_and_not1_b32 exec_lo, exec_lo, s23
	s_cbranch_execz .LBB2_163
.LBB2_153:                              ; =>This Inner Loop Header: Depth=1
	global_load_b32 v6, v4, s[2:3] scale_offset
	s_mov_b32 s24, exec_lo
	s_wait_loadcnt 0x0
	v_cmp_gt_f32_e32 vcc_lo, 0, v6
	v_cndmask_b32_e64 v5, 0x7fffffff, 0, vcc_lo
	s_delay_alu instid0(VALU_DEP_1) | instskip(SKIP_3) | instid1(VALU_DEP_2)
	v_bitop3_b32 v7, v5, s22, v6 bitop3:0x48
	v_ashrrev_i32_e32 v5, 31, v4
	s_wait_dscnt 0x0
	s_wait_xcnt 0x0
	v_cmpx_ge_u32_e64 v7, v1
	s_xor_b32 s24, exec_lo, s24
	s_cbranch_execz .LBB2_160
; %bb.154:                              ;   in Loop: Header=BB2_153 Depth=1
	s_mov_b32 s25, exec_lo
	v_cmpx_eq_u32_e64 v7, v1
	s_cbranch_execz .LBB2_159
; %bb.155:                              ;   in Loop: Header=BB2_153 Depth=1
	v_lshl_add_u64 v[8:9], v[4:5], 2, s[4:5]
	s_mov_b32 s26, exec_lo
	s_mov_b32 s27, exec_lo
	global_load_b32 v7, v[8:9], off
	s_wait_xcnt 0x0
	v_mbcnt_lo_u32_b32 v8, s26, 0
                                        ; implicit-def: $vgpr9
	s_delay_alu instid0(VALU_DEP_1)
	v_cmpx_eq_u32_e32 0, v8
; %bb.156:                              ;   in Loop: Header=BB2_153 Depth=1
	s_bcnt1_i32_b32 s26, s26
	s_delay_alu instid0(SALU_CYCLE_1)
	v_mov_b32_e32 v9, s26
	ds_add_rtn_u32 v9, v2, v9 offset:512
; %bb.157:                              ;   in Loop: Header=BB2_153 Depth=1
	s_or_b32 exec_lo, exec_lo, s27
	s_wait_dscnt 0x0
	v_readfirstlane_b32 s26, v9
	s_delay_alu instid0(VALU_DEP_1) | instskip(NEXT) | instid1(VALU_DEP_1)
	v_add_nc_u32_e32 v8, s26, v8
	v_cmp_lt_i32_e32 vcc_lo, v8, v3
	s_and_b32 exec_lo, exec_lo, vcc_lo
	s_cbranch_execz .LBB2_159
; %bb.158:                              ;   in Loop: Header=BB2_153 Depth=1
	v_xad_u32 v8, v8, -1, s10
	global_store_b32 v8, v6, s[6:7] scale_offset
	s_wait_loadcnt 0x0
	global_store_b32 v8, v7, s[8:9] scale_offset
.LBB2_159:                              ;   in Loop: Header=BB2_153 Depth=1
	s_wait_xcnt 0x0
	s_or_b32 exec_lo, exec_lo, s25
                                        ; implicit-def: $vgpr6
.LBB2_160:                              ;   in Loop: Header=BB2_153 Depth=1
	s_and_not1_saveexec_b32 s24, s24
	s_cbranch_execz .LBB2_152
; %bb.161:                              ;   in Loop: Header=BB2_153 Depth=1
	s_mov_b32 s26, exec_lo
	s_mov_b32 s25, exec_lo
	s_wait_loadcnt 0x0
	v_mbcnt_lo_u32_b32 v7, s26, 0
                                        ; implicit-def: $vgpr8
	s_delay_alu instid0(VALU_DEP_1)
	v_cmpx_eq_u32_e32 0, v7
	s_cbranch_execz .LBB2_151
; %bb.162:                              ;   in Loop: Header=BB2_153 Depth=1
	s_bcnt1_i32_b32 s26, s26
	s_delay_alu instid0(SALU_CYCLE_1)
	v_mov_b32_e32 v8, s26
	ds_add_rtn_u32 v8, v2, v8 offset:384
	s_branch .LBB2_151
.LBB2_163:
	s_or_b32 exec_lo, exec_lo, s21
	s_cbranch_execz .LBB2_165
	s_branch .LBB2_180
.LBB2_164:
.LBB2_165:
	s_and_saveexec_b32 s4, s0
	s_cbranch_execz .LBB2_179
; %bb.166:
	v_dual_mov_b32 v2, 0 :: v_dual_mov_b32 v4, v0
	s_lshl_b32 s0, -1, s20
	s_mov_b32 s5, 0
	s_branch .LBB2_169
.LBB2_167:                              ;   in Loop: Header=BB2_169 Depth=1
	s_or_b32 exec_lo, exec_lo, s22
	s_wait_dscnt 0x0
	v_readfirstlane_b32 s22, v7
	s_delay_alu instid0(VALU_DEP_1)
	v_add_nc_u32_e32 v6, s22, v6
	s_clause 0x1
	global_store_b32 v6, v5, s[6:7] scale_offset
	global_store_b32 v6, v4, s[8:9] scale_offset
.LBB2_168:                              ;   in Loop: Header=BB2_169 Depth=1
	s_wait_xcnt 0x0
	s_or_b32 exec_lo, exec_lo, s21
	v_add_nc_u32_e32 v4, s11, v4
	s_delay_alu instid0(VALU_DEP_1) | instskip(SKIP_1) | instid1(SALU_CYCLE_1)
	v_cmp_le_i32_e32 vcc_lo, s1, v4
	s_or_b32 s5, vcc_lo, s5
	s_and_not1_b32 exec_lo, exec_lo, s5
	s_cbranch_execz .LBB2_179
.LBB2_169:                              ; =>This Inner Loop Header: Depth=1
	global_load_b32 v5, v4, s[2:3] scale_offset
	s_mov_b32 s21, exec_lo
	s_wait_loadcnt 0x0
	v_cmp_gt_f32_e32 vcc_lo, 0, v5
	v_cndmask_b32_e64 v6, 0x7fffffff, 0, vcc_lo
	s_delay_alu instid0(VALU_DEP_1) | instskip(SKIP_2) | instid1(VALU_DEP_1)
	v_bitop3_b32 v6, v6, s0, v5 bitop3:0x48
	s_wait_dscnt 0x0
	s_wait_xcnt 0x0
	v_cmpx_ge_u32_e64 v6, v1
	s_xor_b32 s21, exec_lo, s21
	s_cbranch_execz .LBB2_176
; %bb.170:                              ;   in Loop: Header=BB2_169 Depth=1
	s_mov_b32 s22, exec_lo
	v_cmpx_eq_u32_e64 v6, v1
	s_cbranch_execz .LBB2_175
; %bb.171:                              ;   in Loop: Header=BB2_169 Depth=1
	s_mov_b32 s24, exec_lo
	s_mov_b32 s23, exec_lo
	v_mbcnt_lo_u32_b32 v6, s24, 0
                                        ; implicit-def: $vgpr7
	s_delay_alu instid0(VALU_DEP_1)
	v_cmpx_eq_u32_e32 0, v6
; %bb.172:                              ;   in Loop: Header=BB2_169 Depth=1
	s_bcnt1_i32_b32 s24, s24
	s_delay_alu instid0(SALU_CYCLE_1)
	v_mov_b32_e32 v7, s24
	ds_add_rtn_u32 v7, v2, v7 offset:512
; %bb.173:                              ;   in Loop: Header=BB2_169 Depth=1
	s_or_b32 exec_lo, exec_lo, s23
	s_wait_dscnt 0x0
	v_readfirstlane_b32 s23, v7
	s_delay_alu instid0(VALU_DEP_1) | instskip(NEXT) | instid1(VALU_DEP_1)
	v_add_nc_u32_e32 v6, s23, v6
	v_cmp_lt_i32_e32 vcc_lo, v6, v3
	s_and_b32 exec_lo, exec_lo, vcc_lo
	s_cbranch_execz .LBB2_175
; %bb.174:                              ;   in Loop: Header=BB2_169 Depth=1
	v_xad_u32 v6, v6, -1, s10
	s_clause 0x1
	global_store_b32 v6, v5, s[6:7] scale_offset
	global_store_b32 v6, v4, s[8:9] scale_offset
.LBB2_175:                              ;   in Loop: Header=BB2_169 Depth=1
	s_wait_xcnt 0x0
	s_or_b32 exec_lo, exec_lo, s22
                                        ; implicit-def: $vgpr5
.LBB2_176:                              ;   in Loop: Header=BB2_169 Depth=1
	s_and_not1_saveexec_b32 s21, s21
	s_cbranch_execz .LBB2_168
; %bb.177:                              ;   in Loop: Header=BB2_169 Depth=1
	s_mov_b32 s23, exec_lo
	s_mov_b32 s22, exec_lo
	v_mbcnt_lo_u32_b32 v6, s23, 0
                                        ; implicit-def: $vgpr7
	s_delay_alu instid0(VALU_DEP_1)
	v_cmpx_eq_u32_e32 0, v6
	s_cbranch_execz .LBB2_167
; %bb.178:                              ;   in Loop: Header=BB2_169 Depth=1
	s_bcnt1_i32_b32 s23, s23
	s_delay_alu instid0(SALU_CYCLE_1)
	v_mov_b32_e32 v7, s23
	ds_add_rtn_u32 v7, v2, v7 offset:384
	s_branch .LBB2_167
.LBB2_179:
	s_or_b32 exec_lo, exec_lo, s4
.LBB2_180:
	s_mov_b32 s0, 0
.LBB2_181:
	s_delay_alu instid0(SALU_CYCLE_1)
	s_and_not1_b32 vcc_lo, exec_lo, s0
	s_cbranch_vccnz .LBB2_221
; %bb.182:
	s_wait_dscnt 0x0
	v_mov_b32_e32 v1, 0
	s_xor_b32 s21, s36, -1
	s_and_b32 s0, s41, exec_lo
	s_cselect_b32 s0, 0, s14
	s_cselect_b32 s1, 0, s15
	ds_load_2addr_b32 v[2:3], v1 offset1:3
	s_cmp_eq_u64 s[18:19], 0
	s_cselect_b32 s5, s13, s1
	s_cselect_b32 s13, s33, s40
	;; [unrolled: 1-line block ×3, first 2 shown]
	v_cmp_gt_i32_e64 s0, s13, v0
	s_cselect_b32 s3, s17, s19
	s_cselect_b32 s2, s16, s18
	s_cmp_eq_u64 s[4:5], 0
	s_cbranch_scc1 .LBB2_202
; %bb.183:
	s_and_saveexec_b32 s12, s0
	s_cbranch_execz .LBB2_201
; %bb.184:
	v_dual_mov_b32 v1, 0 :: v_dual_mov_b32 v4, v0
	s_lshl_b32 s14, -1, s20
	s_mov_b32 s15, 0
	s_branch .LBB2_187
.LBB2_185:                              ;   in Loop: Header=BB2_187 Depth=1
	s_or_b32 exec_lo, exec_lo, s16
	v_lshl_add_u64 v[10:11], v[4:5], 2, s[4:5]
	s_wait_dscnt 0x0
	v_readfirstlane_b32 s16, v8
	global_load_b32 v5, v[10:11], off
	v_add_nc_u32_e32 v7, s16, v7
	global_store_b32 v7, v6, s[6:7] scale_offset
	s_wait_loadcnt 0x0
	global_store_b32 v7, v5, s[8:9] scale_offset
.LBB2_186:                              ;   in Loop: Header=BB2_187 Depth=1
	s_wait_xcnt 0x0
	s_or_b32 exec_lo, exec_lo, s1
	v_add_nc_u32_e32 v4, s11, v4
	s_delay_alu instid0(VALU_DEP_1) | instskip(SKIP_1) | instid1(SALU_CYCLE_1)
	v_cmp_le_i32_e32 vcc_lo, s13, v4
	s_or_b32 s15, vcc_lo, s15
	s_and_not1_b32 exec_lo, exec_lo, s15
	s_cbranch_execz .LBB2_201
.LBB2_187:                              ; =>This Inner Loop Header: Depth=1
	global_load_b32 v6, v4, s[2:3] scale_offset
	s_and_b32 vcc_lo, exec_lo, s21
	s_mov_b32 s16, -1
                                        ; implicit-def: $vgpr7
	s_wait_loadcnt 0x0
	v_cmp_gt_f32_e64 s1, 0, v6
	s_cbranch_vccz .LBB2_189
; %bb.188:                              ;   in Loop: Header=BB2_187 Depth=1
	v_cndmask_b32_e64 v5, 0x7fffffff, 0, s1
	s_mov_b32 s16, 0
	s_delay_alu instid0(VALU_DEP_1)
	v_bitop3_b32 v7, v5, s14, v6 bitop3:0x48
.LBB2_189:                              ;   in Loop: Header=BB2_187 Depth=1
	s_and_not1_b32 vcc_lo, exec_lo, s16
	s_cbranch_vccnz .LBB2_191
; %bb.190:                              ;   in Loop: Header=BB2_187 Depth=1
	v_cndmask_b32_e64 v5, 0x7ff, 0, s1
	s_delay_alu instid0(VALU_DEP_1)
	v_bitop3_b32 v7, v5, v6, 0x7ff bitop3:0x78
.LBB2_191:                              ;   in Loop: Header=BB2_187 Depth=1
	v_ashrrev_i32_e32 v5, 31, v4
	s_mov_b32 s1, exec_lo
	s_wait_dscnt 0x0
	s_wait_xcnt 0x0
	v_cmpx_ge_u32_e64 v7, v3
	s_xor_b32 s1, exec_lo, s1
	s_cbranch_execz .LBB2_198
; %bb.192:                              ;   in Loop: Header=BB2_187 Depth=1
	s_mov_b32 s16, exec_lo
	v_cmpx_eq_u32_e64 v7, v3
	s_cbranch_execz .LBB2_197
; %bb.193:                              ;   in Loop: Header=BB2_187 Depth=1
	v_lshl_add_u64 v[8:9], v[4:5], 2, s[4:5]
	s_mov_b32 s17, exec_lo
	s_mov_b32 s18, exec_lo
	global_load_b32 v7, v[8:9], off
	s_wait_xcnt 0x0
	v_mbcnt_lo_u32_b32 v8, s17, 0
                                        ; implicit-def: $vgpr9
	s_delay_alu instid0(VALU_DEP_1)
	v_cmpx_eq_u32_e32 0, v8
; %bb.194:                              ;   in Loop: Header=BB2_187 Depth=1
	s_bcnt1_i32_b32 s17, s17
	s_delay_alu instid0(SALU_CYCLE_1)
	v_mov_b32_e32 v9, s17
	ds_add_rtn_u32 v9, v1, v9 offset:512
; %bb.195:                              ;   in Loop: Header=BB2_187 Depth=1
	s_or_b32 exec_lo, exec_lo, s18
	s_wait_dscnt 0x0
	v_readfirstlane_b32 s17, v9
	s_delay_alu instid0(VALU_DEP_1) | instskip(NEXT) | instid1(VALU_DEP_1)
	v_add_nc_u32_e32 v8, s17, v8
	v_cmp_lt_i32_e32 vcc_lo, v8, v2
	s_and_b32 exec_lo, exec_lo, vcc_lo
	s_cbranch_execz .LBB2_197
; %bb.196:                              ;   in Loop: Header=BB2_187 Depth=1
	v_xad_u32 v8, v8, -1, s10
	global_store_b32 v8, v6, s[6:7] scale_offset
	s_wait_loadcnt 0x0
	global_store_b32 v8, v7, s[8:9] scale_offset
.LBB2_197:                              ;   in Loop: Header=BB2_187 Depth=1
	s_wait_xcnt 0x0
	s_or_b32 exec_lo, exec_lo, s16
                                        ; implicit-def: $vgpr6
.LBB2_198:                              ;   in Loop: Header=BB2_187 Depth=1
	s_and_not1_saveexec_b32 s1, s1
	s_cbranch_execz .LBB2_186
; %bb.199:                              ;   in Loop: Header=BB2_187 Depth=1
	s_mov_b32 s17, exec_lo
	s_mov_b32 s16, exec_lo
	s_wait_loadcnt 0x0
	v_mbcnt_lo_u32_b32 v7, s17, 0
                                        ; implicit-def: $vgpr8
	s_delay_alu instid0(VALU_DEP_1)
	v_cmpx_eq_u32_e32 0, v7
	s_cbranch_execz .LBB2_185
; %bb.200:                              ;   in Loop: Header=BB2_187 Depth=1
	s_bcnt1_i32_b32 s17, s17
	s_delay_alu instid0(SALU_CYCLE_1)
	v_mov_b32_e32 v8, s17
	ds_add_rtn_u32 v8, v1, v8 offset:384
	s_branch .LBB2_185
.LBB2_201:
	s_or_b32 exec_lo, exec_lo, s12
	s_cbranch_execz .LBB2_203
	s_branch .LBB2_221
.LBB2_202:
.LBB2_203:
	s_and_saveexec_b32 s1, s0
	s_cbranch_execz .LBB2_221
; %bb.204:
	v_mov_b32_e32 v1, 0
	s_lshl_b32 s1, -1, s20
	s_mov_b32 s4, 0
	s_branch .LBB2_207
.LBB2_205:                              ;   in Loop: Header=BB2_207 Depth=1
	s_or_b32 exec_lo, exec_lo, s5
	s_wait_dscnt 0x0
	v_readfirstlane_b32 s5, v6
	s_delay_alu instid0(VALU_DEP_1)
	v_add_nc_u32_e32 v5, s5, v5
	s_clause 0x1
	global_store_b32 v5, v4, s[6:7] scale_offset
	global_store_b32 v5, v0, s[8:9] scale_offset
.LBB2_206:                              ;   in Loop: Header=BB2_207 Depth=1
	s_wait_xcnt 0x0
	s_or_b32 exec_lo, exec_lo, s0
	v_add_nc_u32_e32 v0, s11, v0
	s_delay_alu instid0(VALU_DEP_1) | instskip(SKIP_1) | instid1(SALU_CYCLE_1)
	v_cmp_le_i32_e32 vcc_lo, s13, v0
	s_or_b32 s4, vcc_lo, s4
	s_and_not1_b32 exec_lo, exec_lo, s4
	s_cbranch_execz .LBB2_221
.LBB2_207:                              ; =>This Inner Loop Header: Depth=1
	global_load_b32 v4, v0, s[2:3] scale_offset
	s_and_b32 vcc_lo, exec_lo, s21
	s_mov_b32 s5, -1
                                        ; implicit-def: $vgpr5
	s_wait_loadcnt 0x0
	v_cmp_gt_f32_e64 s0, 0, v4
	s_cbranch_vccnz .LBB2_211
; %bb.208:                              ;   in Loop: Header=BB2_207 Depth=1
	s_and_not1_b32 vcc_lo, exec_lo, s5
	s_cbranch_vccz .LBB2_212
.LBB2_209:                              ;   in Loop: Header=BB2_207 Depth=1
	s_mov_b32 s0, exec_lo
	s_wait_dscnt 0x0
	s_wait_xcnt 0x0
	v_cmpx_ge_u32_e64 v5, v3
	s_xor_b32 s0, exec_lo, s0
	s_cbranch_execnz .LBB2_213
.LBB2_210:                              ;   in Loop: Header=BB2_207 Depth=1
	s_and_not1_saveexec_b32 s0, s0
	s_cbranch_execz .LBB2_206
	s_branch .LBB2_219
.LBB2_211:                              ;   in Loop: Header=BB2_207 Depth=1
	v_cndmask_b32_e64 v5, 0x7fffffff, 0, s0
	s_delay_alu instid0(VALU_DEP_1)
	v_bitop3_b32 v5, v5, s1, v4 bitop3:0x48
	s_cbranch_execnz .LBB2_209
.LBB2_212:                              ;   in Loop: Header=BB2_207 Depth=1
	v_cndmask_b32_e64 v5, 0x7ff, 0, s0
	s_delay_alu instid0(VALU_DEP_1) | instskip(SKIP_3) | instid1(VALU_DEP_1)
	v_bitop3_b32 v5, v5, v4, 0x7ff bitop3:0x78
	s_mov_b32 s0, exec_lo
	s_wait_dscnt 0x0
	s_wait_xcnt 0x0
	v_cmpx_ge_u32_e64 v5, v3
	s_xor_b32 s0, exec_lo, s0
	s_cbranch_execz .LBB2_210
.LBB2_213:                              ;   in Loop: Header=BB2_207 Depth=1
	s_mov_b32 s5, exec_lo
	v_cmpx_eq_u32_e64 v5, v3
	s_cbranch_execz .LBB2_218
; %bb.214:                              ;   in Loop: Header=BB2_207 Depth=1
	s_mov_b32 s14, exec_lo
	s_mov_b32 s12, exec_lo
	v_mbcnt_lo_u32_b32 v5, s14, 0
                                        ; implicit-def: $vgpr6
	s_delay_alu instid0(VALU_DEP_1)
	v_cmpx_eq_u32_e32 0, v5
; %bb.215:                              ;   in Loop: Header=BB2_207 Depth=1
	s_bcnt1_i32_b32 s14, s14
	s_delay_alu instid0(SALU_CYCLE_1)
	v_mov_b32_e32 v6, s14
	ds_add_rtn_u32 v6, v1, v6 offset:512
; %bb.216:                              ;   in Loop: Header=BB2_207 Depth=1
	s_or_b32 exec_lo, exec_lo, s12
	s_wait_dscnt 0x0
	v_readfirstlane_b32 s12, v6
	s_delay_alu instid0(VALU_DEP_1) | instskip(NEXT) | instid1(VALU_DEP_1)
	v_add_nc_u32_e32 v5, s12, v5
	v_cmp_lt_i32_e32 vcc_lo, v5, v2
	s_and_b32 exec_lo, exec_lo, vcc_lo
	s_cbranch_execz .LBB2_218
; %bb.217:                              ;   in Loop: Header=BB2_207 Depth=1
	v_xad_u32 v5, v5, -1, s10
	s_clause 0x1
	global_store_b32 v5, v4, s[6:7] scale_offset
	global_store_b32 v5, v0, s[8:9] scale_offset
.LBB2_218:                              ;   in Loop: Header=BB2_207 Depth=1
	s_wait_xcnt 0x0
	s_or_b32 exec_lo, exec_lo, s5
                                        ; implicit-def: $vgpr4
	s_and_not1_saveexec_b32 s0, s0
	s_cbranch_execz .LBB2_206
.LBB2_219:                              ;   in Loop: Header=BB2_207 Depth=1
	s_mov_b32 s12, exec_lo
	s_mov_b32 s5, exec_lo
	v_mbcnt_lo_u32_b32 v5, s12, 0
                                        ; implicit-def: $vgpr6
	s_delay_alu instid0(VALU_DEP_1)
	v_cmpx_eq_u32_e32 0, v5
	s_cbranch_execz .LBB2_205
; %bb.220:                              ;   in Loop: Header=BB2_207 Depth=1
	s_bcnt1_i32_b32 s12, s12
	s_delay_alu instid0(SALU_CYCLE_1)
	v_mov_b32_e32 v6, s12
	ds_add_rtn_u32 v6, v1, v6 offset:384
	s_branch .LBB2_205
.LBB2_221:
	s_endpgm
	.section	.rodata,"a",@progbits
	.p2align	6, 0x0
	.amdhsa_kernel _Z27radix_topk_one_block_kernelIfiLi11ELi1024ELb1ELb0EL5Phase0EEvPKT_PKT0_lS6_S6_S4_PS1_PS4_bPci
		.amdhsa_group_segment_fixed_size 25604
		.amdhsa_private_segment_fixed_size 0
		.amdhsa_kernarg_size 344
		.amdhsa_user_sgpr_count 2
		.amdhsa_user_sgpr_dispatch_ptr 0
		.amdhsa_user_sgpr_queue_ptr 0
		.amdhsa_user_sgpr_kernarg_segment_ptr 1
		.amdhsa_user_sgpr_dispatch_id 0
		.amdhsa_user_sgpr_kernarg_preload_length 0
		.amdhsa_user_sgpr_kernarg_preload_offset 0
		.amdhsa_user_sgpr_private_segment_size 0
		.amdhsa_wavefront_size32 1
		.amdhsa_uses_dynamic_stack 0
		.amdhsa_enable_private_segment 0
		.amdhsa_system_sgpr_workgroup_id_x 1
		.amdhsa_system_sgpr_workgroup_id_y 0
		.amdhsa_system_sgpr_workgroup_id_z 0
		.amdhsa_system_sgpr_workgroup_info 0
		.amdhsa_system_vgpr_workitem_id 0
		.amdhsa_next_free_vgpr 56
		.amdhsa_next_free_sgpr 55
		.amdhsa_named_barrier_count 0
		.amdhsa_reserve_vcc 1
		.amdhsa_float_round_mode_32 0
		.amdhsa_float_round_mode_16_64 0
		.amdhsa_float_denorm_mode_32 3
		.amdhsa_float_denorm_mode_16_64 3
		.amdhsa_fp16_overflow 0
		.amdhsa_memory_ordered 1
		.amdhsa_forward_progress 1
		.amdhsa_inst_pref_size 64
		.amdhsa_round_robin_scheduling 0
		.amdhsa_exception_fp_ieee_invalid_op 0
		.amdhsa_exception_fp_denorm_src 0
		.amdhsa_exception_fp_ieee_div_zero 0
		.amdhsa_exception_fp_ieee_overflow 0
		.amdhsa_exception_fp_ieee_underflow 0
		.amdhsa_exception_fp_ieee_inexact 0
		.amdhsa_exception_int_div_zero 0
	.end_amdhsa_kernel
	.section	.text._Z27radix_topk_one_block_kernelIfiLi11ELi1024ELb1ELb0EL5Phase0EEvPKT_PKT0_lS6_S6_S4_PS1_PS4_bPci,"axG",@progbits,_Z27radix_topk_one_block_kernelIfiLi11ELi1024ELb1ELb0EL5Phase0EEvPKT_PKT0_lS6_S6_S4_PS1_PS4_bPci,comdat
.Lfunc_end2:
	.size	_Z27radix_topk_one_block_kernelIfiLi11ELi1024ELb1ELb0EL5Phase0EEvPKT_PKT0_lS6_S6_S4_PS1_PS4_bPci, .Lfunc_end2-_Z27radix_topk_one_block_kernelIfiLi11ELi1024ELb1ELb0EL5Phase0EEvPKT_PKT0_lS6_S6_S4_PS1_PS4_bPci
                                        ; -- End function
	.set _Z27radix_topk_one_block_kernelIfiLi11ELi1024ELb1ELb0EL5Phase0EEvPKT_PKT0_lS6_S6_S4_PS1_PS4_bPci.num_vgpr, 56
	.set _Z27radix_topk_one_block_kernelIfiLi11ELi1024ELb1ELb0EL5Phase0EEvPKT_PKT0_lS6_S6_S4_PS1_PS4_bPci.num_agpr, 0
	.set _Z27radix_topk_one_block_kernelIfiLi11ELi1024ELb1ELb0EL5Phase0EEvPKT_PKT0_lS6_S6_S4_PS1_PS4_bPci.numbered_sgpr, 55
	.set _Z27radix_topk_one_block_kernelIfiLi11ELi1024ELb1ELb0EL5Phase0EEvPKT_PKT0_lS6_S6_S4_PS1_PS4_bPci.num_named_barrier, 0
	.set _Z27radix_topk_one_block_kernelIfiLi11ELi1024ELb1ELb0EL5Phase0EEvPKT_PKT0_lS6_S6_S4_PS1_PS4_bPci.private_seg_size, 0
	.set _Z27radix_topk_one_block_kernelIfiLi11ELi1024ELb1ELb0EL5Phase0EEvPKT_PKT0_lS6_S6_S4_PS1_PS4_bPci.uses_vcc, 1
	.set _Z27radix_topk_one_block_kernelIfiLi11ELi1024ELb1ELb0EL5Phase0EEvPKT_PKT0_lS6_S6_S4_PS1_PS4_bPci.uses_flat_scratch, 0
	.set _Z27radix_topk_one_block_kernelIfiLi11ELi1024ELb1ELb0EL5Phase0EEvPKT_PKT0_lS6_S6_S4_PS1_PS4_bPci.has_dyn_sized_stack, 0
	.set _Z27radix_topk_one_block_kernelIfiLi11ELi1024ELb1ELb0EL5Phase0EEvPKT_PKT0_lS6_S6_S4_PS1_PS4_bPci.has_recursion, 0
	.set _Z27radix_topk_one_block_kernelIfiLi11ELi1024ELb1ELb0EL5Phase0EEvPKT_PKT0_lS6_S6_S4_PS1_PS4_bPci.has_indirect_call, 0
	.section	.AMDGPU.csdata,"",@progbits
; Kernel info:
; codeLenInByte = 8184
; TotalNumSgprs: 57
; NumVgprs: 56
; ScratchSize: 0
; MemoryBound: 0
; FloatMode: 240
; IeeeMode: 1
; LDSByteSize: 25604 bytes/workgroup (compile time only)
; SGPRBlocks: 0
; VGPRBlocks: 3
; NumSGPRsForWavesPerEU: 57
; NumVGPRsForWavesPerEU: 56
; NamedBarCnt: 0
; Occupancy: 16
; WaveLimiterHint : 0
; COMPUTE_PGM_RSRC2:SCRATCH_EN: 0
; COMPUTE_PGM_RSRC2:USER_SGPR: 2
; COMPUTE_PGM_RSRC2:TRAP_HANDLER: 0
; COMPUTE_PGM_RSRC2:TGID_X_EN: 1
; COMPUTE_PGM_RSRC2:TGID_Y_EN: 0
; COMPUTE_PGM_RSRC2:TGID_Z_EN: 0
; COMPUTE_PGM_RSRC2:TIDIG_COMP_CNT: 0
	.section	.text._Z27radix_topk_one_block_kernelIfiLi11ELi1024ELb0ELb0EL5Phase0EEvPKT_PKT0_lS6_S6_S4_PS1_PS4_bPci,"axG",@progbits,_Z27radix_topk_one_block_kernelIfiLi11ELi1024ELb0ELb0EL5Phase0EEvPKT_PKT0_lS6_S6_S4_PS1_PS4_bPci,comdat
	.protected	_Z27radix_topk_one_block_kernelIfiLi11ELi1024ELb0ELb0EL5Phase0EEvPKT_PKT0_lS6_S6_S4_PS1_PS4_bPci ; -- Begin function _Z27radix_topk_one_block_kernelIfiLi11ELi1024ELb0ELb0EL5Phase0EEvPKT_PKT0_lS6_S6_S4_PS1_PS4_bPci
	.globl	_Z27radix_topk_one_block_kernelIfiLi11ELi1024ELb0ELb0EL5Phase0EEvPKT_PKT0_lS6_S6_S4_PS1_PS4_bPci
	.p2align	8
	.type	_Z27radix_topk_one_block_kernelIfiLi11ELi1024ELb0ELb0EL5Phase0EEvPKT_PKT0_lS6_S6_S4_PS1_PS4_bPci,@function
_Z27radix_topk_one_block_kernelIfiLi11ELi1024ELb0ELb0EL5Phase0EEvPKT_PKT0_lS6_S6_S4_PS1_PS4_bPci: ; @_Z27radix_topk_one_block_kernelIfiLi11ELi1024ELb0ELb0EL5Phase0EEvPKT_PKT0_lS6_S6_S4_PS1_PS4_bPci
; %bb.0:
	s_clause 0x1
	s_load_b256 s[8:15], s[0:1], 0x0
	s_load_b64 s[2:3], s[0:1], 0x20
	s_bfe_u32 s4, ttmp6, 0x4000c
	s_and_b32 s5, ttmp6, 15
	s_add_co_i32 s4, s4, 1
	s_getreg_b32 s6, hwreg(HW_REG_IB_STS2, 6, 4)
	s_mul_i32 s4, ttmp9, s4
	s_mov_b32 s17, 0
	s_add_co_i32 s5, s5, s4
	s_cmp_eq_u32 s6, 0
	s_cselect_b32 s16, ttmp9, s5
	s_wait_kmcnt 0x0
	s_cmp_eq_u64 s[14:15], 0
	s_cselect_b32 s4, -1, 0
	s_cmp_eq_u64 s[2:3], 0
	s_cselect_b32 s5, -1, 0
	s_delay_alu instid0(SALU_CYCLE_1)
	s_or_b32 s4, s4, s5
	s_mov_b32 s5, s17
	s_and_b32 vcc_lo, exec_lo, s4
	s_mov_b32 s4, s12
	s_cbranch_vccnz .LBB3_2
; %bb.1:
	s_lshl_b64 s[4:5], s[16:17], 2
	s_delay_alu instid0(SALU_CYCLE_1)
	s_add_nc_u64 s[6:7], s[14:15], s[4:5]
	s_add_nc_u64 s[2:3], s[2:3], s[4:5]
	s_load_b32 s5, s[6:7], 0x0
	s_load_b32 s4, s[2:3], 0x0
.LBB3_2:
	s_wait_xcnt 0x0
	s_load_b32 s6, s[0:1], 0x28
	v_cmp_ne_u32_e64 s2, 0, v0
	v_cmp_eq_u32_e64 s3, 0, v0
	s_wait_kmcnt 0x0
	s_sub_co_i32 s33, s4, s5
	s_and_saveexec_b32 s4, s3
	s_cbranch_execz .LBB3_4
; %bb.3:
	v_dual_mov_b32 v3, s33 :: v_dual_mov_b32 v5, 0
	v_dual_mov_b32 v2, s6 :: v_dual_mov_b32 v4, s33
	ds_store_b128 v5, v[2:5]
	ds_store_2addr_b32 v5, v5, v5 offset0:96 offset1:128
.LBB3_4:
	s_or_b32 exec_lo, exec_lo, s4
	s_load_b64 s[14:15], s[0:1], 0x38
	s_ashr_i32 s7, s6, 31
	s_mov_b32 s4, -1
	s_mul_u64 s[18:19], s[6:7], s[16:17]
	s_wait_dscnt 0x0
	s_lshl_b64 s[18:19], s[18:19], 2
	s_cmp_gt_i32 s33, s6
	s_barrier_signal -1
	s_barrier_wait -1
	s_wait_kmcnt 0x0
	s_add_nc_u64 s[14:15], s[14:15], s[18:19]
	s_cbranch_scc1 .LBB3_14
; %bb.5:
	s_mov_b32 s7, exec_lo
	v_cmpx_gt_i32_e64 s6, v0
	s_cbranch_execz .LBB3_13
; %bb.6:
	v_xad_u32 v1, v0, -1, s6
	v_mov_b32_e32 v2, v0
	s_mov_b32 s18, exec_lo
	s_delay_alu instid0(VALU_DEP_2)
	v_cmpx_lt_u32_e32 0x3ff, v1
	s_cbranch_execz .LBB3_10
; %bb.7:
	v_dual_lshrrev_b32 v1, 10, v1 :: v_dual_mov_b32 v3, 0
	s_mov_b32 s19, s33
	s_mov_b32 s21, s5
	;; [unrolled: 1-line block ×3, first 2 shown]
	s_delay_alu instid0(VALU_DEP_1) | instskip(SKIP_1) | instid1(VALU_DEP_2)
	v_add_nc_u32_e32 v6, 1, v1
	v_or_b32_e32 v1, 0x400, v0
	v_and_b32_e32 v7, 0x7ffffe, v6
	s_delay_alu instid0(VALU_DEP_2) | instskip(NEXT) | instid1(VALU_DEP_2)
	v_mov_b64_e32 v[4:5], v[0:1]
	v_mov_b32_e32 v8, v7
.LBB3_8:                                ; =>This Inner Loop Header: Depth=1
	s_delay_alu instid0(VALU_DEP_2) | instskip(NEXT) | instid1(VALU_DEP_2)
	v_dual_mov_b32 v2, v4 :: v_dual_add_nc_u32 v1, s5, v4
	v_dual_add_nc_u32 v9, s21, v5 :: v_dual_add_nc_u32 v8, -2, v8
	v_cmp_gt_i32_e64 s4, s19, v5
	v_cmp_gt_i32_e32 vcc_lo, s33, v4
	s_delay_alu instid0(VALU_DEP_4)
	v_lshl_add_u64 v[10:11], v[2:3], 2, s[14:15]
	v_mov_b32_e32 v2, v5
	v_add_nc_u32_e32 v4, 0x800, v4
	v_cndmask_b32_e64 v9, -1, v9, s4
	v_cmp_eq_u32_e64 s4, 0, v8
	v_cndmask_b32_e32 v1, -1, v1, vcc_lo
	v_add_nc_u32_e32 v5, 0x800, v5
	v_lshl_add_u64 v[12:13], v[2:3], 2, s[14:15]
	s_clause 0x1
	global_store_b32 v[10:11], v1, off
	global_store_b32 v[12:13], v9, off
	s_or_b32 s20, s4, s20
	s_wait_xcnt 0x0
	s_and_not1_b32 exec_lo, exec_lo, s20
	s_cbranch_execnz .LBB3_8
; %bb.9:
	s_or_b32 exec_lo, exec_lo, s20
	v_cmp_ne_u32_e32 vcc_lo, v6, v7
	v_lshl_or_b32 v2, v7, 10, v0
	s_or_not1_b32 s4, vcc_lo, exec_lo
.LBB3_10:
	s_or_b32 exec_lo, exec_lo, s18
	s_delay_alu instid0(SALU_CYCLE_1)
	s_and_b32 exec_lo, exec_lo, s4
	s_cbranch_execz .LBB3_13
; %bb.11:
	v_mov_b32_e32 v3, 0
	s_mov_b32 s4, 0
	s_delay_alu instid0(VALU_DEP_1)
	v_lshl_add_u64 v[4:5], v[2:3], 2, s[14:15]
.LBB3_12:                               ; =>This Inner Loop Header: Depth=1
	v_add_nc_u32_e32 v1, s5, v2
	v_cmp_gt_i32_e32 vcc_lo, s33, v2
	s_delay_alu instid0(VALU_DEP_2) | instskip(NEXT) | instid1(VALU_DEP_1)
	v_dual_cndmask_b32 v1, -1, v1 :: v_dual_add_nc_u32 v2, 0x400, v2
	v_cmp_le_i32_e32 vcc_lo, s6, v2
	global_store_b32 v[4:5], v1, off
	s_wait_xcnt 0x0
	v_add_nc_u64_e32 v[4:5], 0x1000, v[4:5]
	s_or_b32 s4, vcc_lo, s4
	s_delay_alu instid0(SALU_CYCLE_1)
	s_and_not1_b32 exec_lo, exec_lo, s4
	s_cbranch_execnz .LBB3_12
.LBB3_13:
	s_or_b32 exec_lo, exec_lo, s7
	s_mov_b32 s4, 0
.LBB3_14:
	s_delay_alu instid0(SALU_CYCLE_1)
	s_and_not1_b32 vcc_lo, exec_lo, s4
	s_cbranch_vccnz .LBB3_236
; %bb.15:
	v_or_b32_e32 v2, 0x400, v0
	s_clause 0x1
	s_load_b32 s7, s[0:1], 0x64
	s_load_b64 s[4:5], s[0:1], 0x48
	v_dual_lshrrev_b32 v1, 3, v0 :: v_dual_lshlrev_b32 v9, 2, v0
	v_dual_lshrrev_b32 v3, 2, v0 :: v_dual_lshrrev_b32 v2, 3, v2
	v_sub_nc_u32_e32 v4, 0xffe, v0
	s_delay_alu instid0(VALU_DEP_3)
	v_and_b32_e32 v1, 0x7c, v1
	s_wait_xcnt 0x0
	s_mul_u64 s[0:1], s[12:13], s[16:17]
	v_and_b32_e32 v3, 0xfc, v3
	v_and_b32_e32 v2, 0xfc, v2
	s_lshl_b64 s[0:1], s[0:1], 2
	v_add3_u32 v10, v9, v1, 0x4280
	v_mov_b32_e32 v12, 0
	v_or_b32_e32 v13, 0x6380, v1
	v_add3_u32 v11, v2, v9, 0x4280
	v_add_nc_u32_e32 v2, 0x4280, v3
	v_dual_lshlrev_b32 v3, 3, v0 :: v_dual_add_nc_u32 v5, -1, v0
	v_lshrrev_b32_e32 v4, 1, v4
	v_sub_nc_u32_e32 v1, 0x1000, v0
	s_cmp_lg_u64 s[10:11], 0
	s_add_nc_u64 s[10:11], s[10:11], s[0:1]
	s_add_nc_u64 s[8:9], s[8:9], s[0:1]
	s_cselect_b32 s11, s11, 0
	s_cselect_b32 s10, s10, 0
	s_lshr_b32 s0, s12, 5
	v_dual_lshrrev_b32 v6, 3, v5 :: v_dual_add_nc_u32 v4, 1, v4
	v_lshlrev_b32_e32 v5, 2, v5
	v_and_b32_e32 v7, 0x1ffe, v1
	s_mov_b32 s21, 0
	s_and_b32 s20, s0, 0x7ffffc0
	s_wait_kmcnt 0x0
	s_and_b32 s7, s7, 0xffff
	s_mul_u64 s[0:1], s[16:17], s[20:21]
	v_and_b32_e32 v6, 0x1ffffffc, v6
	s_lshl_b64 s[0:1], s[0:1], 4
	v_dual_lshlrev_b32 v4, 1, v4 :: v_dual_bitop2_b32 v8, 7, v4 bitop3:0x40
	v_add_nc_u32_e32 v16, v0, v7
	s_cmp_eq_u32 s7, 1
	s_add_nc_u64 s[22:23], s[4:5], s[0:1]
	s_cselect_b32 s40, -1, 0
	s_lshl_b32 s4, s20, 3
	s_mov_b32 s5, s21
	s_movk_i32 s1, 0x84
	s_lshl_b32 s12, s20, 2
	s_mov_b32 s13, s21
	v_cmp_gt_u32_e64 s0, 32, v0
	s_add_nc_u64 s[24:25], s[22:23], s[4:5]
	v_mad_u32_u24 v14, v0, s1, 0x4280
	v_add3_u32 v15, v6, v5, 0x4280
	v_cmp_ne_u32_e64 s1, 0, v8
	v_cmp_ne_u32_e64 s4, v1, v7
	v_dual_mov_b32 v22, 1 :: v_dual_add_nc_u32 v17, 0x280, v9
	v_and_b32_e32 v18, 0x1ff0, v4
	v_lshlrev_b32_e32 v19, 3, v8
	v_add_nc_u32_e32 v20, 0x27c, v9
	v_dual_lshlrev_b32 v21, 2, v16 :: v_dual_add_nc_u32 v25, v2, v3
	v_mov_b32_e32 v23, 0x7c
	v_mbcnt_lo_u32_b32 v24, -1, 0
	s_sub_nc_u64 s[16:17], 0, s[12:13]
	s_mov_b64 s[18:19], src_shared_base
	s_add_nc_u64 s[26:27], s[24:25], s[16:17]
	s_add_nc_u64 s[28:29], s[24:25], s[12:13]
	s_lshl_b32 s41, s7, 2
	s_branch .LBB3_17
.LBB3_16:                               ;   in Loop: Header=BB3_17 Depth=1
	s_delay_alu instid0(VALU_DEP_1)
	s_and_not1_b32 vcc_lo, exec_lo, s30
	s_cbranch_vccz .LBB3_150
.LBB3_17:                               ; =>This Loop Header: Depth=1
                                        ;     Child Loop BB3_24 Depth 2
                                        ;     Child Loop BB3_27 Depth 2
	;; [unrolled: 1-line block ×8, first 2 shown]
	s_mov_b64 s[36:37], 0
	s_cmp_lt_i32 s21, 1
	s_mov_b64 s[16:17], s[8:9]
	s_mov_b64 s[34:35], 0
	;; [unrolled: 1-line block ×3, first 2 shown]
	s_cbranch_scc1 .LBB3_22
; %bb.18:                               ;   in Loop: Header=BB3_17 Depth=1
	s_cmp_lg_u32 s21, 1
	s_mov_b32 s5, -1
	s_cbranch_scc0 .LBB3_20
; %bb.19:                               ;   in Loop: Header=BB3_17 Depth=1
	s_mov_b32 s5, 0
.LBB3_20:                               ;   in Loop: Header=BB3_17 Depth=1
	s_mov_b64 s[12:13], s[28:29]
	s_mov_b64 s[34:35], s[26:27]
	s_and_not1_b32 vcc_lo, exec_lo, s5
	s_mov_b64 s[36:37], s[24:25]
	s_mov_b64 s[16:17], s[22:23]
	s_cbranch_vccnz .LBB3_22
; %bb.21:                               ;   in Loop: Header=BB3_17 Depth=1
	s_mov_b64 s[12:13], s[24:25]
	s_mov_b64 s[34:35], s[22:23]
	s_mov_b64 s[36:37], s[10:11]
	s_mov_b64 s[16:17], s[8:9]
.LBB3_22:                               ;   in Loop: Header=BB3_17 Depth=1
	ds_load_b96 v[2:4], v12
	v_mov_b32_e32 v1, v0
	s_and_not1_b32 vcc_lo, exec_lo, s40
	s_mov_b32 s30, -1
	s_wait_dscnt 0x0
	v_readfirstlane_b32 s42, v2
	v_readfirstlane_b32 s38, v3
	;; [unrolled: 1-line block ×3, first 2 shown]
	v_mov_b32_e32 v2, v9
	s_cbranch_vccnz .LBB3_31
; %bb.23:                               ;   in Loop: Header=BB3_17 Depth=1
	v_mov_b32_e32 v1, v17
	s_mov_b32 s18, 0
	s_mov_b32 s30, 0
.LBB3_24:                               ;   Parent Loop BB3_17 Depth=1
                                        ; =>  This Inner Loop Header: Depth=2
	s_delay_alu instid0(SALU_CYCLE_1)
	s_add_co_i32 s30, s30, 16
	ds_store_2addr_b32 v1, v12, v12 offset1:1
	ds_store_2addr_b32 v1, v12, v12 offset0:2 offset1:3
	ds_store_2addr_b32 v1, v12, v12 offset0:4 offset1:5
	;; [unrolled: 1-line block ×3, first 2 shown]
	v_cmp_eq_u32_e32 vcc_lo, s30, v18
	ds_store_2addr_b32 v1, v12, v12 offset0:8 offset1:9
	ds_store_2addr_b32 v1, v12, v12 offset0:10 offset1:11
	;; [unrolled: 1-line block ×4, first 2 shown]
	v_add_nc_u32_e32 v1, 64, v1
	s_or_b32 s18, vcc_lo, s18
	s_delay_alu instid0(SALU_CYCLE_1)
	s_and_not1_b32 exec_lo, exec_lo, s18
	s_cbranch_execnz .LBB3_24
; %bb.25:                               ;   in Loop: Header=BB3_17 Depth=1
	s_or_b32 exec_lo, exec_lo, s18
	s_and_saveexec_b32 s18, s1
	s_cbranch_execz .LBB3_28
; %bb.26:                               ;   in Loop: Header=BB3_17 Depth=1
	s_mov_b32 s30, 0
	s_mov_b32 s31, 0
.LBB3_27:                               ;   Parent Loop BB3_17 Depth=1
                                        ; =>  This Inner Loop Header: Depth=2
	s_delay_alu instid0(SALU_CYCLE_1) | instskip(SKIP_1) | instid1(SALU_CYCLE_1)
	v_add_nc_u32_e32 v2, s31, v1
	s_add_co_i32 s31, s31, 8
	v_cmp_eq_u32_e32 vcc_lo, s31, v19
	ds_store_2addr_b32 v2, v12, v12 offset1:1
	s_or_b32 s30, vcc_lo, s30
	s_delay_alu instid0(SALU_CYCLE_1)
	s_and_not1_b32 exec_lo, exec_lo, s30
	s_cbranch_execnz .LBB3_27
.LBB3_28:                               ;   in Loop: Header=BB3_17 Depth=1
	s_or_b32 exec_lo, exec_lo, s18
	s_mov_b32 s30, 0
	s_and_saveexec_b32 s18, s4
; %bb.29:                               ;   in Loop: Header=BB3_17 Depth=1
	s_mov_b32 s30, exec_lo
; %bb.30:                               ;   in Loop: Header=BB3_17 Depth=1
	s_or_b32 exec_lo, exec_lo, s18
	v_dual_mov_b32 v1, v16 :: v_dual_mov_b32 v2, v21
.LBB3_31:                               ;   in Loop: Header=BB3_17 Depth=1
	s_and_saveexec_b32 s18, s30
	s_cbranch_execz .LBB3_34
; %bb.32:                               ;   in Loop: Header=BB3_17 Depth=1
	s_delay_alu instid0(VALU_DEP_1)
	v_add_nc_u32_e32 v2, 0x280, v2
	s_mov_b32 s30, 0
.LBB3_33:                               ;   Parent Loop BB3_17 Depth=1
                                        ; =>  This Inner Loop Header: Depth=2
	v_add_nc_u32_e32 v1, s7, v1
	ds_store_b32 v2, v12
	v_add_nc_u32_e32 v2, s41, v2
	v_cmp_lt_u32_e32 vcc_lo, 0xfff, v1
	s_or_b32 s30, vcc_lo, s30
	s_delay_alu instid0(SALU_CYCLE_1)
	s_and_not1_b32 exec_lo, exec_lo, s30
	s_cbranch_execnz .LBB3_33
.LBB3_34:                               ;   in Loop: Header=BB3_17 Depth=1
	s_or_b32 exec_lo, exec_lo, s18
	s_and_saveexec_b32 s18, s3
; %bb.35:                               ;   in Loop: Header=BB3_17 Depth=1
	ds_store_b32 v12, v12 offset:128
; %bb.36:                               ;   in Loop: Header=BB3_17 Depth=1
	s_or_b32 exec_lo, exec_lo, s18
	s_cmp_gt_i32 s5, s20
	s_mul_i32 s45, s21, -11
	s_cselect_b32 s46, -1, 0
	s_cmp_gt_i32 s38, s20
	s_wait_storecnt_dscnt 0x0
	s_cselect_b32 s39, -1, 0
	s_and_b32 s18, s46, exec_lo
	s_cselect_b32 s31, s9, s17
	s_cselect_b32 s30, s8, s16
	;; [unrolled: 1-line block ×3, first 2 shown]
	s_and_b32 s5, s39, exec_lo
	s_cselect_b32 s17, 0, s35
	s_cselect_b32 s16, 0, s34
	s_max_i32 s18, s45, 0xffffffeb
	s_add_co_i32 s45, s45, 32
	s_add_co_i32 s18, s18, 21
	s_barrier_signal -1
	s_sub_co_i32 s5, s45, s18
	s_barrier_wait -1
	s_lshl_b32 s5, -1, s5
	s_delay_alu instid0(SALU_CYCLE_1)
	s_not_b32 s43, s5
	s_cmp_lg_u32 s21, 0
	s_cbranch_scc0 .LBB3_52
; %bb.37:                               ;   in Loop: Header=BB3_17 Depth=1
	ds_load_b32 v1, v12 offset:12
	v_cmp_gt_i32_e64 s5, s44, v0
	s_cmp_lg_u64 s[16:17], 0
	s_cbranch_scc0 .LBB3_54
; %bb.38:                               ;   in Loop: Header=BB3_17 Depth=1
	s_and_b32 s46, s46, exec_lo
	s_cselect_b32 s37, s11, s37
	s_cselect_b32 s36, s10, s36
	s_delay_alu instid0(SALU_CYCLE_1)
	s_cmp_eq_u64 s[36:37], 0
	s_cbranch_scc1 .LBB3_55
; %bb.39:                               ;   in Loop: Header=BB3_17 Depth=1
	s_and_saveexec_b32 s46, s5
	s_cbranch_execz .LBB3_53
; %bb.40:                               ;   in Loop: Header=BB3_17 Depth=1
	v_mov_b32_e32 v2, v0
	s_lshl_b32 s47, -1, s45
	s_mov_b32 s48, 0
	s_branch .LBB3_43
.LBB3_41:                               ;   in Loop: Header=BB3_43 Depth=2
	s_or_b32 exec_lo, exec_lo, s50
	v_lshl_add_u64 v[26:27], v[2:3], 2, s[36:37]
	s_wait_dscnt 0x0
	v_readfirstlane_b32 s50, v7
	v_xor_b32_e32 v5, v5, v4
	global_load_b32 v3, v[26:27], off
	v_dual_add_nc_u32 v6, s50, v6 :: v_dual_lshrrev_b32 v5, s18, v5
	global_store_b32 v6, v4, s[34:35] scale_offset
	s_wait_loadcnt 0x0
	global_store_b32 v6, v3, s[12:13] scale_offset
	v_and_b32_e32 v5, s43, v5
	s_delay_alu instid0(VALU_DEP_1)
	v_lshlrev_b32_e32 v5, 2, v5
	ds_add_u32 v5, v22 offset:640
.LBB3_42:                               ;   in Loop: Header=BB3_43 Depth=2
	s_wait_xcnt 0x0
	s_or_b32 exec_lo, exec_lo, s49
	v_add_nc_u32_e32 v2, s7, v2
	s_delay_alu instid0(VALU_DEP_1) | instskip(SKIP_1) | instid1(SALU_CYCLE_1)
	v_cmp_le_i32_e32 vcc_lo, s44, v2
	s_or_b32 s48, vcc_lo, s48
	s_and_not1_b32 exec_lo, exec_lo, s48
	s_cbranch_execz .LBB3_53
.LBB3_43:                               ;   Parent Loop BB3_17 Depth=1
                                        ; =>  This Inner Loop Header: Depth=2
	global_load_b32 v4, v2, s[30:31] scale_offset
	v_ashrrev_i32_e32 v3, 31, v2
	s_mov_b32 s49, exec_lo
	s_wait_loadcnt 0x0
	v_cmp_gt_f32_e32 vcc_lo, 0, v4
	v_cndmask_b32_e64 v5, 0x7fffffff, 0, vcc_lo
	s_delay_alu instid0(VALU_DEP_1) | instskip(SKIP_2) | instid1(VALU_DEP_1)
	v_bitop3_b32 v6, v5, s47, v4 bitop3:0x48
	s_wait_dscnt 0x0
	s_wait_xcnt 0x0
	v_cmpx_ne_u32_e64 v6, v1
	s_xor_b32 s49, exec_lo, s49
	s_cbranch_execz .LBB3_49
; %bb.44:                               ;   in Loop: Header=BB3_43 Depth=2
	s_mov_b32 s50, exec_lo
	v_cmpx_lt_u32_e64 v6, v1
	s_cbranch_execz .LBB3_48
; %bb.45:                               ;   in Loop: Header=BB3_43 Depth=2
	s_mov_b32 s52, exec_lo
	s_mov_b32 s51, exec_lo
	v_mbcnt_lo_u32_b32 v4, s52, 0
                                        ; implicit-def: $vgpr5
	s_delay_alu instid0(VALU_DEP_1)
	v_cmpx_eq_u32_e32 0, v4
; %bb.46:                               ;   in Loop: Header=BB3_43 Depth=2
	s_bcnt1_i32_b32 s52, s52
	s_delay_alu instid0(SALU_CYCLE_1)
	v_mov_b32_e32 v5, s52
	ds_add_rtn_u32 v5, v12, v5 offset:384
; %bb.47:                               ;   in Loop: Header=BB3_43 Depth=2
	s_or_b32 exec_lo, exec_lo, s51
	v_lshl_add_u64 v[6:7], v[2:3], 2, s[36:37]
	s_wait_dscnt 0x0
	v_readfirstlane_b32 s51, v5
	global_load_b32 v6, v[6:7], off
	v_add_nc_u32_e32 v4, s51, v4
	s_wait_loadcnt 0x0
	global_store_b32 v4, v6, s[14:15] scale_offset
.LBB3_48:                               ;   in Loop: Header=BB3_43 Depth=2
	s_wait_xcnt 0x0
	s_or_b32 exec_lo, exec_lo, s50
                                        ; implicit-def: $vgpr5
                                        ; implicit-def: $vgpr4
.LBB3_49:                               ;   in Loop: Header=BB3_43 Depth=2
	s_and_not1_saveexec_b32 s49, s49
	s_cbranch_execz .LBB3_42
; %bb.50:                               ;   in Loop: Header=BB3_43 Depth=2
	s_mov_b32 s51, exec_lo
	s_mov_b32 s50, exec_lo
	v_mbcnt_lo_u32_b32 v6, s51, 0
                                        ; implicit-def: $vgpr7
	s_delay_alu instid0(VALU_DEP_1)
	v_cmpx_eq_u32_e32 0, v6
	s_cbranch_execz .LBB3_41
; %bb.51:                               ;   in Loop: Header=BB3_43 Depth=2
	s_bcnt1_i32_b32 s51, s51
	s_delay_alu instid0(SALU_CYCLE_1)
	v_mov_b32_e32 v7, s51
	ds_add_rtn_u32 v7, v12, v7 offset:128
	s_branch .LBB3_41
.LBB3_52:                               ;   in Loop: Header=BB3_17 Depth=1
	s_mov_b32 s34, 0
	s_branch .LBB3_78
.LBB3_53:                               ;   in Loop: Header=BB3_17 Depth=1
	s_or_b32 exec_lo, exec_lo, s46
	s_cbranch_execz .LBB3_56
	s_branch .LBB3_70
.LBB3_54:                               ;   in Loop: Header=BB3_17 Depth=1
	s_branch .LBB3_71
.LBB3_55:                               ;   in Loop: Header=BB3_17 Depth=1
.LBB3_56:                               ;   in Loop: Header=BB3_17 Depth=1
	s_and_saveexec_b32 s36, s5
	s_cbranch_execz .LBB3_69
; %bb.57:                               ;   in Loop: Header=BB3_17 Depth=1
	v_mov_b32_e32 v2, v0
	s_lshl_b32 s5, -1, s45
	s_mov_b32 s37, 0
	s_branch .LBB3_60
.LBB3_58:                               ;   in Loop: Header=BB3_60 Depth=2
	s_or_b32 exec_lo, exec_lo, s47
	s_wait_dscnt 0x0
	v_readfirstlane_b32 s47, v6
	s_delay_alu instid0(VALU_DEP_1) | instskip(NEXT) | instid1(VALU_DEP_1)
	v_dual_add_nc_u32 v5, s47, v5 :: v_dual_bitop2_b32 v4, v4, v3 bitop3:0x14
	v_lshrrev_b32_e32 v4, s18, v4
	s_clause 0x1
	global_store_b32 v5, v3, s[34:35] scale_offset
	global_store_b32 v5, v2, s[12:13] scale_offset
	v_and_b32_e32 v4, s43, v4
	s_delay_alu instid0(VALU_DEP_1)
	v_lshlrev_b32_e32 v4, 2, v4
	ds_add_u32 v4, v22 offset:640
.LBB3_59:                               ;   in Loop: Header=BB3_60 Depth=2
	s_wait_xcnt 0x0
	s_or_b32 exec_lo, exec_lo, s46
	v_add_nc_u32_e32 v2, s7, v2
	s_delay_alu instid0(VALU_DEP_1) | instskip(SKIP_1) | instid1(SALU_CYCLE_1)
	v_cmp_le_i32_e32 vcc_lo, s44, v2
	s_or_b32 s37, vcc_lo, s37
	s_and_not1_b32 exec_lo, exec_lo, s37
	s_cbranch_execz .LBB3_69
.LBB3_60:                               ;   Parent Loop BB3_17 Depth=1
                                        ; =>  This Inner Loop Header: Depth=2
	global_load_b32 v3, v2, s[30:31] scale_offset
	s_mov_b32 s46, exec_lo
	s_wait_loadcnt 0x0
	v_cmp_gt_f32_e32 vcc_lo, 0, v3
	v_cndmask_b32_e64 v4, 0x7fffffff, 0, vcc_lo
	s_delay_alu instid0(VALU_DEP_1) | instskip(SKIP_2) | instid1(VALU_DEP_1)
	v_bitop3_b32 v5, v4, s5, v3 bitop3:0x48
	s_wait_dscnt 0x0
	s_wait_xcnt 0x0
	v_cmpx_ne_u32_e64 v5, v1
	s_xor_b32 s46, exec_lo, s46
	s_cbranch_execz .LBB3_66
; %bb.61:                               ;   in Loop: Header=BB3_60 Depth=2
	s_mov_b32 s47, exec_lo
	v_cmpx_lt_u32_e64 v5, v1
	s_cbranch_execz .LBB3_65
; %bb.62:                               ;   in Loop: Header=BB3_60 Depth=2
	s_mov_b32 s49, exec_lo
	s_mov_b32 s48, exec_lo
	v_mbcnt_lo_u32_b32 v3, s49, 0
                                        ; implicit-def: $vgpr4
	s_delay_alu instid0(VALU_DEP_1)
	v_cmpx_eq_u32_e32 0, v3
; %bb.63:                               ;   in Loop: Header=BB3_60 Depth=2
	s_bcnt1_i32_b32 s49, s49
	s_delay_alu instid0(SALU_CYCLE_1)
	v_mov_b32_e32 v4, s49
	ds_add_rtn_u32 v4, v12, v4 offset:384
; %bb.64:                               ;   in Loop: Header=BB3_60 Depth=2
	s_or_b32 exec_lo, exec_lo, s48
	s_wait_dscnt 0x0
	v_readfirstlane_b32 s48, v4
	s_delay_alu instid0(VALU_DEP_1)
	v_add_nc_u32_e32 v3, s48, v3
	global_store_b32 v3, v2, s[14:15] scale_offset
.LBB3_65:                               ;   in Loop: Header=BB3_60 Depth=2
	s_wait_xcnt 0x0
	s_or_b32 exec_lo, exec_lo, s47
                                        ; implicit-def: $vgpr4
                                        ; implicit-def: $vgpr3
.LBB3_66:                               ;   in Loop: Header=BB3_60 Depth=2
	s_and_not1_saveexec_b32 s46, s46
	s_cbranch_execz .LBB3_59
; %bb.67:                               ;   in Loop: Header=BB3_60 Depth=2
	s_mov_b32 s48, exec_lo
	s_mov_b32 s47, exec_lo
	v_mbcnt_lo_u32_b32 v5, s48, 0
                                        ; implicit-def: $vgpr6
	s_delay_alu instid0(VALU_DEP_1)
	v_cmpx_eq_u32_e32 0, v5
	s_cbranch_execz .LBB3_58
; %bb.68:                               ;   in Loop: Header=BB3_60 Depth=2
	s_bcnt1_i32_b32 s48, s48
	s_delay_alu instid0(SALU_CYCLE_1)
	v_mov_b32_e32 v6, s48
	ds_add_rtn_u32 v6, v12, v6 offset:128
	s_branch .LBB3_58
.LBB3_69:                               ;   in Loop: Header=BB3_17 Depth=1
	s_or_b32 exec_lo, exec_lo, s36
.LBB3_70:                               ;   in Loop: Header=BB3_17 Depth=1
	s_cbranch_execnz .LBB3_77
.LBB3_71:                               ;   in Loop: Header=BB3_17 Depth=1
	s_mov_b32 s5, exec_lo
	v_cmpx_gt_i32_e64 s44, v0
	s_cbranch_execz .LBB3_76
; %bb.72:                               ;   in Loop: Header=BB3_17 Depth=1
	v_mov_b32_e32 v2, v0
	s_lshl_b32 s34, -1, s45
	s_mov_b32 s35, 0
	s_branch .LBB3_74
.LBB3_73:                               ;   in Loop: Header=BB3_74 Depth=2
	s_or_b32 exec_lo, exec_lo, s36
	v_add_nc_u32_e32 v2, s7, v2
	s_delay_alu instid0(VALU_DEP_1) | instskip(SKIP_1) | instid1(SALU_CYCLE_1)
	v_cmp_le_i32_e32 vcc_lo, s44, v2
	s_or_b32 s35, vcc_lo, s35
	s_and_not1_b32 exec_lo, exec_lo, s35
	s_cbranch_execz .LBB3_76
.LBB3_74:                               ;   Parent Loop BB3_17 Depth=1
                                        ; =>  This Inner Loop Header: Depth=2
	global_load_b32 v3, v2, s[30:31] scale_offset
	s_mov_b32 s36, exec_lo
	s_wait_loadcnt 0x0
	v_cmp_gt_f32_e32 vcc_lo, 0, v3
	v_cndmask_b32_e64 v4, 0x7fffffff, 0, vcc_lo
	s_delay_alu instid0(VALU_DEP_1) | instskip(SKIP_2) | instid1(VALU_DEP_1)
	v_bitop3_b32 v5, v4, s34, v3 bitop3:0x48
	s_wait_dscnt 0x0
	s_wait_xcnt 0x0
	v_cmpx_eq_u32_e64 v5, v1
	s_cbranch_execz .LBB3_73
; %bb.75:                               ;   in Loop: Header=BB3_74 Depth=2
	v_xor_b32_e32 v3, v4, v3
	s_delay_alu instid0(VALU_DEP_1) | instskip(NEXT) | instid1(VALU_DEP_1)
	v_lshrrev_b32_e32 v3, s18, v3
	v_and_b32_e32 v3, s43, v3
	s_delay_alu instid0(VALU_DEP_1)
	v_lshlrev_b32_e32 v3, 2, v3
	ds_add_u32 v3, v22 offset:640
	s_branch .LBB3_73
.LBB3_76:                               ;   in Loop: Header=BB3_17 Depth=1
	s_or_b32 exec_lo, exec_lo, s5
.LBB3_77:                               ;   in Loop: Header=BB3_17 Depth=1
	s_mov_b32 s34, 0
	s_cbranch_execnz .LBB3_136
.LBB3_78:                               ;   in Loop: Header=BB3_17 Depth=1
	s_and_b64 s[34:35], s[30:31], 15
	s_wait_dscnt 0x0
	v_dual_mov_b32 v1, 0xff7fffff :: v_dual_mov_b32 v8, 0
	s_sub_co_i32 s5, 16, s34
	v_dual_mov_b32 v6, 0x7f7fffff :: v_dual_mov_b32 v7, -1
	s_lshr_b32 s5, s5, 2
	s_cmp_lg_u64 s[34:35], 0
	s_mov_b32 s46, 0
	s_cselect_b32 s5, s5, 0
	s_mov_b32 s45, exec_lo
	s_min_i32 s34, s5, s44
                                        ; implicit-def: $vgpr5
	s_delay_alu instid0(SALU_CYCLE_1) | instskip(NEXT) | instid1(SALU_CYCLE_1)
	s_sub_co_i32 s5, s44, s34
	s_ashr_i32 s35, s5, 31
	s_delay_alu instid0(SALU_CYCLE_1) | instskip(NEXT) | instid1(SALU_CYCLE_1)
	s_lshr_b32 s35, s35, 30
	s_add_co_i32 s5, s5, s35
	s_delay_alu instid0(SALU_CYCLE_1) | instskip(NEXT) | instid1(SALU_CYCLE_1)
	s_ashr_i32 s5, s5, 2
	v_cmpx_gt_i32_e64 s5, v0
	s_cbranch_execz .LBB3_106
; %bb.79:                               ;   in Loop: Header=BB3_17 Depth=1
	s_ashr_i32 s35, s34, 31
	v_dual_mov_b32 v7, -1 :: v_dual_mov_b32 v6, 0x7f7fffff
	v_dual_mov_b32 v1, 0xff7fffff :: v_dual_mov_b32 v8, 0
	v_mov_b32_e32 v26, v0
	s_lshl_b64 s[36:37], s[34:35], 2
	s_delay_alu instid0(SALU_CYCLE_1)
	s_add_nc_u64 s[36:37], s[30:31], s[36:37]
	s_branch .LBB3_81
.LBB3_80:                               ;   in Loop: Header=BB3_81 Depth=2
	s_or_b32 exec_lo, exec_lo, s35
	v_and_b32_e32 v27, 0x7ff, v29
	v_min3_num_f32 v6, v6, v2, v3
	v_max3_num_f32 v1, v1, v2, v3
	s_delay_alu instid0(VALU_DEP_3) | instskip(NEXT) | instid1(VALU_DEP_3)
	v_dual_add_nc_u32 v26, s7, v26 :: v_dual_lshlrev_b32 v27, 2, v27
	v_min3_num_f32 v6, v6, v4, v5
	s_delay_alu instid0(VALU_DEP_3) | instskip(NEXT) | instid1(VALU_DEP_3)
	v_max3_num_f32 v1, v1, v4, v5
	v_cmp_le_i32_e32 vcc_lo, s5, v26
	ds_add_u32 v27, v22 offset:8832
	s_or_b32 s46, vcc_lo, s46
	s_delay_alu instid0(SALU_CYCLE_1)
	s_and_not1_b32 exec_lo, exec_lo, s46
	s_cbranch_execz .LBB3_105
.LBB3_81:                               ;   Parent Loop BB3_17 Depth=1
                                        ; =>  This Inner Loop Header: Depth=2
	global_load_b128 v[2:5], v26, s[36:37] scale_offset
	s_mov_b32 s35, exec_lo
	s_wait_loadcnt 0x0
	v_cmp_gt_f32_e32 vcc_lo, 0, v2
	v_cndmask_b32_e64 v27, 0x7fffffff, 0, vcc_lo
	s_delay_alu instid0(VALU_DEP_1) | instskip(NEXT) | instid1(VALU_DEP_1)
	v_xor_b32_e32 v29, v27, v2
	v_lshrrev_b32_e32 v27, s18, v29
	s_delay_alu instid0(VALU_DEP_1) | instskip(SKIP_1) | instid1(VALU_DEP_1)
	v_and_b32_e32 v27, s43, v27
	s_wait_xcnt 0x0
	v_cmpx_ne_u32_e64 v27, v7
	s_xor_b32 s35, exec_lo, s35
	s_cbranch_execz .LBB3_85
; %bb.82:                               ;   in Loop: Header=BB3_81 Depth=2
	s_mov_b32 s47, exec_lo
	v_cmpx_lt_i32_e32 0, v8
; %bb.83:                               ;   in Loop: Header=BB3_81 Depth=2
	v_lshlrev_b32_e32 v7, 2, v7
	ds_add_u32 v7, v8 offset:640
; %bb.84:                               ;   in Loop: Header=BB3_81 Depth=2
	s_or_b32 exec_lo, exec_lo, s47
                                        ; implicit-def: $vgpr8
                                        ; implicit-def: $vgpr7
.LBB3_85:                               ;   in Loop: Header=BB3_81 Depth=2
	s_or_saveexec_b32 s35, s35
	v_mov_b32_e32 v28, 1
	s_xor_b32 exec_lo, exec_lo, s35
; %bb.86:                               ;   in Loop: Header=BB3_81 Depth=2
	v_dual_mov_b32 v27, v7 :: v_dual_add_nc_u32 v28, 1, v8
; %bb.87:                               ;   in Loop: Header=BB3_81 Depth=2
	s_or_b32 exec_lo, exec_lo, s35
	v_and_b32_e32 v7, 0x7ff, v29
	v_cmp_gt_f32_e32 vcc_lo, 0, v3
	s_mov_b32 s35, exec_lo
	s_delay_alu instid0(VALU_DEP_2) | instskip(SKIP_3) | instid1(VALU_DEP_1)
	v_lshlrev_b32_e32 v7, 2, v7
	v_cndmask_b32_e64 v8, 0x7fffffff, 0, vcc_lo
	ds_add_u32 v7, v22 offset:8832
	v_xor_b32_e32 v29, v8, v3
	v_lshrrev_b32_e32 v7, s18, v29
	s_delay_alu instid0(VALU_DEP_1) | instskip(NEXT) | instid1(VALU_DEP_1)
	v_and_b32_e32 v7, s43, v7
	v_cmpx_ne_u32_e64 v7, v27
	s_xor_b32 s35, exec_lo, s35
	s_cbranch_execz .LBB3_91
; %bb.88:                               ;   in Loop: Header=BB3_81 Depth=2
	s_mov_b32 s47, exec_lo
	v_cmpx_lt_i32_e32 0, v28
; %bb.89:                               ;   in Loop: Header=BB3_81 Depth=2
	v_lshlrev_b32_e32 v8, 2, v27
	ds_add_u32 v8, v28 offset:640
; %bb.90:                               ;   in Loop: Header=BB3_81 Depth=2
	s_or_b32 exec_lo, exec_lo, s47
                                        ; implicit-def: $vgpr28
                                        ; implicit-def: $vgpr27
.LBB3_91:                               ;   in Loop: Header=BB3_81 Depth=2
	s_or_saveexec_b32 s35, s35
	v_mov_b32_e32 v8, 1
	s_xor_b32 exec_lo, exec_lo, s35
; %bb.92:                               ;   in Loop: Header=BB3_81 Depth=2
	v_dual_mov_b32 v7, v27 :: v_dual_add_nc_u32 v8, 1, v28
; %bb.93:                               ;   in Loop: Header=BB3_81 Depth=2
	s_or_b32 exec_lo, exec_lo, s35
	v_and_b32_e32 v27, 0x7ff, v29
	v_cmp_gt_f32_e32 vcc_lo, 0, v4
	s_mov_b32 s35, exec_lo
	v_cndmask_b32_e64 v28, 0x7fffffff, 0, vcc_lo
	s_delay_alu instid0(VALU_DEP_1) | instskip(SKIP_2) | instid1(VALU_DEP_1)
	v_dual_lshlrev_b32 v27, 2, v27 :: v_dual_bitop2_b32 v29, v28, v4 bitop3:0x14
	ds_add_u32 v27, v22 offset:8832
	v_lshrrev_b32_e32 v27, s18, v29
	v_and_b32_e32 v27, s43, v27
	s_delay_alu instid0(VALU_DEP_1)
	v_cmpx_ne_u32_e64 v27, v7
	s_xor_b32 s35, exec_lo, s35
	s_cbranch_execz .LBB3_97
; %bb.94:                               ;   in Loop: Header=BB3_81 Depth=2
	s_mov_b32 s47, exec_lo
	v_cmpx_lt_i32_e32 0, v8
; %bb.95:                               ;   in Loop: Header=BB3_81 Depth=2
	v_lshlrev_b32_e32 v7, 2, v7
	ds_add_u32 v7, v8 offset:640
; %bb.96:                               ;   in Loop: Header=BB3_81 Depth=2
	s_or_b32 exec_lo, exec_lo, s47
                                        ; implicit-def: $vgpr8
                                        ; implicit-def: $vgpr7
.LBB3_97:                               ;   in Loop: Header=BB3_81 Depth=2
	s_or_saveexec_b32 s35, s35
	v_mov_b32_e32 v28, 1
	s_xor_b32 exec_lo, exec_lo, s35
; %bb.98:                               ;   in Loop: Header=BB3_81 Depth=2
	v_dual_mov_b32 v27, v7 :: v_dual_add_nc_u32 v28, 1, v8
; %bb.99:                               ;   in Loop: Header=BB3_81 Depth=2
	s_or_b32 exec_lo, exec_lo, s35
	v_and_b32_e32 v7, 0x7ff, v29
	v_cmp_gt_f32_e32 vcc_lo, 0, v5
	s_mov_b32 s35, exec_lo
	v_cndmask_b32_e64 v8, 0x7fffffff, 0, vcc_lo
	s_delay_alu instid0(VALU_DEP_1) | instskip(SKIP_2) | instid1(VALU_DEP_1)
	v_dual_lshlrev_b32 v7, 2, v7 :: v_dual_bitop2_b32 v29, v8, v5 bitop3:0x14
	ds_add_u32 v7, v22 offset:8832
	v_lshrrev_b32_e32 v7, s18, v29
	v_and_b32_e32 v7, s43, v7
	s_delay_alu instid0(VALU_DEP_1)
	v_cmpx_ne_u32_e64 v7, v27
	s_xor_b32 s35, exec_lo, s35
	s_cbranch_execz .LBB3_103
; %bb.100:                              ;   in Loop: Header=BB3_81 Depth=2
	s_mov_b32 s47, exec_lo
	v_cmpx_lt_i32_e32 0, v28
; %bb.101:                              ;   in Loop: Header=BB3_81 Depth=2
	v_lshlrev_b32_e32 v8, 2, v27
	ds_add_u32 v8, v28 offset:640
; %bb.102:                              ;   in Loop: Header=BB3_81 Depth=2
	s_or_b32 exec_lo, exec_lo, s47
                                        ; implicit-def: $vgpr28
                                        ; implicit-def: $vgpr27
.LBB3_103:                              ;   in Loop: Header=BB3_81 Depth=2
	s_or_saveexec_b32 s35, s35
	v_mov_b32_e32 v8, 1
	s_xor_b32 exec_lo, exec_lo, s35
	s_cbranch_execz .LBB3_80
; %bb.104:                              ;   in Loop: Header=BB3_81 Depth=2
	v_dual_mov_b32 v7, v27 :: v_dual_add_nc_u32 v8, 1, v28
	s_branch .LBB3_80
.LBB3_105:                              ;   in Loop: Header=BB3_17 Depth=1
	s_or_b32 exec_lo, exec_lo, s46
.LBB3_106:                              ;   in Loop: Header=BB3_17 Depth=1
	s_delay_alu instid0(SALU_CYCLE_1) | instskip(NEXT) | instid1(SALU_CYCLE_1)
	s_or_b32 exec_lo, exec_lo, s45
	s_mov_b32 s35, exec_lo
	v_cmpx_gt_u32_e64 s34, v0
	s_cbranch_execz .LBB3_114
; %bb.107:                              ;   in Loop: Header=BB3_17 Depth=1
	global_load_b32 v5, v0, s[30:31] scale_offset
	s_mov_b32 s36, exec_lo
	s_wait_loadcnt 0x0
	v_cmp_gt_f32_e32 vcc_lo, 0, v5
	v_cndmask_b32_e64 v2, 0x7fffffff, 0, vcc_lo
	s_delay_alu instid0(VALU_DEP_1) | instskip(NEXT) | instid1(VALU_DEP_1)
	v_xor_b32_e32 v3, v2, v5
	v_lshrrev_b32_e32 v2, s18, v3
	s_delay_alu instid0(VALU_DEP_1) | instskip(SKIP_1) | instid1(VALU_DEP_1)
	v_and_b32_e32 v2, s43, v2
	s_wait_xcnt 0x0
	v_cmpx_ne_u32_e64 v2, v7
	s_xor_b32 s36, exec_lo, s36
	s_cbranch_execz .LBB3_111
; %bb.108:                              ;   in Loop: Header=BB3_17 Depth=1
	s_mov_b32 s37, exec_lo
	v_cmpx_lt_i32_e32 0, v8
; %bb.109:                              ;   in Loop: Header=BB3_17 Depth=1
	v_lshlrev_b32_e32 v4, 2, v7
	ds_add_u32 v4, v8 offset:640
; %bb.110:                              ;   in Loop: Header=BB3_17 Depth=1
	s_or_b32 exec_lo, exec_lo, s37
                                        ; implicit-def: $vgpr8
                                        ; implicit-def: $vgpr7
.LBB3_111:                              ;   in Loop: Header=BB3_17 Depth=1
	s_or_saveexec_b32 s36, s36
	v_mov_b32_e32 v4, 1
	s_xor_b32 exec_lo, exec_lo, s36
; %bb.112:                              ;   in Loop: Header=BB3_17 Depth=1
	v_dual_add_nc_u32 v4, 1, v8 :: v_dual_mov_b32 v2, v7
; %bb.113:                              ;   in Loop: Header=BB3_17 Depth=1
	s_or_b32 exec_lo, exec_lo, s36
	v_and_b32_e32 v3, 0x7ff, v3
	v_max_num_f32_e32 v7, v5, v5
	s_delay_alu instid0(VALU_DEP_3) | instskip(NEXT) | instid1(VALU_DEP_3)
	v_dual_max_num_f32 v1, v1, v1 :: v_dual_mov_b32 v8, v4
	v_lshlrev_b32_e32 v3, 2, v3
	s_delay_alu instid0(VALU_DEP_2) | instskip(SKIP_2) | instid1(VALU_DEP_1)
	v_max_num_f32_e32 v1, v1, v7
	ds_add_u32 v3, v22 offset:8832
	v_max_num_f32_e32 v3, v6, v6
	v_dual_min_num_f32 v6, v3, v7 :: v_dual_mov_b32 v7, v2
.LBB3_114:                              ;   in Loop: Header=BB3_17 Depth=1
	s_or_b32 exec_lo, exec_lo, s35
	s_lshl_b32 s5, s5, 2
	s_delay_alu instid0(SALU_CYCLE_1) | instskip(SKIP_1) | instid1(VALU_DEP_1)
	v_add3_u32 v2, s5, s34, v0
	s_mov_b32 s5, exec_lo
	v_cmpx_gt_i32_e64 s44, v2
	s_cbranch_execz .LBB3_122
; %bb.115:                              ;   in Loop: Header=BB3_17 Depth=1
	global_load_b32 v5, v2, s[30:31] scale_offset
	s_wait_xcnt 0x0
	s_mov_b32 s30, exec_lo
	s_wait_loadcnt 0x0
	v_cmp_gt_f32_e32 vcc_lo, 0, v5
	v_cndmask_b32_e64 v2, 0x7fffffff, 0, vcc_lo
	s_delay_alu instid0(VALU_DEP_1) | instskip(NEXT) | instid1(VALU_DEP_1)
	v_xor_b32_e32 v3, v2, v5
	v_lshrrev_b32_e32 v2, s18, v3
	s_delay_alu instid0(VALU_DEP_1) | instskip(NEXT) | instid1(VALU_DEP_1)
	v_and_b32_e32 v2, s43, v2
	v_cmpx_ne_u32_e64 v2, v7
	s_xor_b32 s30, exec_lo, s30
	s_cbranch_execz .LBB3_119
; %bb.116:                              ;   in Loop: Header=BB3_17 Depth=1
	s_mov_b32 s31, exec_lo
	v_cmpx_lt_i32_e32 0, v8
; %bb.117:                              ;   in Loop: Header=BB3_17 Depth=1
	v_lshlrev_b32_e32 v4, 2, v7
	ds_add_u32 v4, v8 offset:640
; %bb.118:                              ;   in Loop: Header=BB3_17 Depth=1
	s_or_b32 exec_lo, exec_lo, s31
                                        ; implicit-def: $vgpr8
                                        ; implicit-def: $vgpr7
.LBB3_119:                              ;   in Loop: Header=BB3_17 Depth=1
	s_or_saveexec_b32 s30, s30
	v_mov_b32_e32 v4, 1
	s_xor_b32 exec_lo, exec_lo, s30
; %bb.120:                              ;   in Loop: Header=BB3_17 Depth=1
	v_dual_add_nc_u32 v4, 1, v8 :: v_dual_mov_b32 v2, v7
; %bb.121:                              ;   in Loop: Header=BB3_17 Depth=1
	s_or_b32 exec_lo, exec_lo, s30
	v_and_b32_e32 v3, 0x7ff, v3
	v_max_num_f32_e32 v7, v5, v5
	s_delay_alu instid0(VALU_DEP_3) | instskip(NEXT) | instid1(VALU_DEP_3)
	v_dual_max_num_f32 v1, v1, v1 :: v_dual_mov_b32 v8, v4
	v_lshlrev_b32_e32 v3, 2, v3
	s_delay_alu instid0(VALU_DEP_2) | instskip(SKIP_2) | instid1(VALU_DEP_1)
	v_max_num_f32_e32 v1, v1, v7
	ds_add_u32 v3, v22 offset:8832
	v_max_num_f32_e32 v3, v6, v6
	v_dual_min_num_f32 v6, v3, v7 :: v_dual_mov_b32 v7, v2
.LBB3_122:                              ;   in Loop: Header=BB3_17 Depth=1
	s_or_b32 exec_lo, exec_lo, s5
	s_delay_alu instid0(SALU_CYCLE_1)
	s_mov_b32 s5, exec_lo
	v_cmpx_lt_i32_e32 0, v8
	s_cbranch_execz .LBB3_125
; %bb.123:                              ;   in Loop: Header=BB3_17 Depth=1
	v_cmp_lt_f32_e32 vcc_lo, 0, v5
	v_xor_b32_e32 v2, 0x80000000, v5
	v_cndmask_b32_e64 v3, 0x7fffffff, 0, vcc_lo
	s_delay_alu instid0(VALU_DEP_1) | instskip(NEXT) | instid1(VALU_DEP_1)
	v_xor_b32_e32 v2, v3, v2
	v_lshrrev_b32_e32 v2, s18, v2
	s_delay_alu instid0(VALU_DEP_1) | instskip(NEXT) | instid1(VALU_DEP_1)
	v_and_b32_e32 v2, s43, v2
	v_cmp_ne_u32_e32 vcc_lo, v2, v7
	s_and_b32 exec_lo, exec_lo, vcc_lo
; %bb.124:                              ;   in Loop: Header=BB3_17 Depth=1
	v_lshlrev_b32_e32 v2, 2, v7
	ds_add_u32 v2, v8 offset:640
.LBB3_125:                              ;   in Loop: Header=BB3_17 Depth=1
	s_or_b32 exec_lo, exec_lo, s5
	v_mov_b32_dpp v2, v6 quad_perm:[1,0,3,2] row_mask:0xf bank_mask:0xf
	s_delay_alu instid0(VALU_DEP_1) | instskip(SKIP_1) | instid1(VALU_DEP_1)
	v_cmp_lt_f32_e32 vcc_lo, v6, v2
	v_cndmask_b32_e32 v2, v2, v6, vcc_lo
	v_mov_b32_dpp v3, v2 quad_perm:[2,3,0,1] row_mask:0xf bank_mask:0xf
	s_delay_alu instid0(VALU_DEP_1) | instskip(SKIP_1) | instid1(VALU_DEP_1)
	v_cmp_lt_f32_e32 vcc_lo, v2, v3
	v_cndmask_b32_e32 v2, v3, v2, vcc_lo
	v_mov_b32_dpp v3, v2 row_ror:4 row_mask:0xf bank_mask:0xf
	s_delay_alu instid0(VALU_DEP_1) | instskip(SKIP_1) | instid1(VALU_DEP_1)
	v_cmp_lt_f32_e32 vcc_lo, v2, v3
	v_cndmask_b32_e32 v2, v3, v2, vcc_lo
	v_mov_b32_dpp v3, v2 row_ror:8 row_mask:0xf bank_mask:0xf
	s_delay_alu instid0(VALU_DEP_1)
	v_cmp_lt_f32_e32 vcc_lo, v2, v3
	v_cndmask_b32_e32 v2, v3, v2, vcc_lo
	ds_swizzle_b32 v3, v2 offset:swizzle(BROADCAST,32,15)
	s_wait_dscnt 0x0
	v_cmp_lt_f32_e32 vcc_lo, v2, v3
	v_cndmask_b32_e32 v2, v3, v2, vcc_lo
	v_cmp_eq_u32_e32 vcc_lo, 0, v24
	ds_bpermute_b32 v2, v12, v2 offset:124
	s_and_saveexec_b32 s5, vcc_lo
	s_cbranch_execz .LBB3_127
; %bb.126:                              ;   in Loop: Header=BB3_17 Depth=1
	s_wait_dscnt 0x0
	ds_store_b32 v13, v2
.LBB3_127:                              ;   in Loop: Header=BB3_17 Depth=1
	s_or_b32 exec_lo, exec_lo, s5
	v_lshlrev_b32_e32 v3, 2, v24
	s_wait_storecnt_dscnt 0x0
	s_barrier_signal -1
	s_barrier_wait -1
	s_and_saveexec_b32 s30, s0
	s_cbranch_execz .LBB3_129
; %bb.128:                              ;   in Loop: Header=BB3_17 Depth=1
	ds_load_b32 v2, v3 offset:25472
	s_wait_dscnt 0x0
	v_mov_b32_dpp v4, v2 quad_perm:[1,0,3,2] row_mask:0xf bank_mask:0xf
	s_delay_alu instid0(VALU_DEP_1) | instskip(NEXT) | instid1(VALU_DEP_1)
	v_cmp_lt_f32_e64 s5, v2, v4
	v_cndmask_b32_e64 v2, v4, v2, s5
	s_delay_alu instid0(VALU_DEP_1) | instskip(NEXT) | instid1(VALU_DEP_1)
	v_mov_b32_dpp v4, v2 quad_perm:[2,3,0,1] row_mask:0xf bank_mask:0xf
	v_cmp_lt_f32_e64 s5, v2, v4
	s_delay_alu instid0(VALU_DEP_1) | instskip(NEXT) | instid1(VALU_DEP_1)
	v_cndmask_b32_e64 v2, v4, v2, s5
	v_mov_b32_dpp v4, v2 row_ror:4 row_mask:0xf bank_mask:0xf
	s_delay_alu instid0(VALU_DEP_1) | instskip(NEXT) | instid1(VALU_DEP_1)
	v_cmp_lt_f32_e64 s5, v2, v4
	v_cndmask_b32_e64 v2, v4, v2, s5
	s_delay_alu instid0(VALU_DEP_1) | instskip(NEXT) | instid1(VALU_DEP_1)
	v_mov_b32_dpp v4, v2 row_ror:8 row_mask:0xf bank_mask:0xf
	v_cmp_lt_f32_e64 s5, v2, v4
	s_delay_alu instid0(VALU_DEP_1) | instskip(SKIP_3) | instid1(VALU_DEP_1)
	v_cndmask_b32_e64 v2, v4, v2, s5
	ds_swizzle_b32 v4, v2 offset:swizzle(BROADCAST,32,15)
	s_wait_dscnt 0x0
	v_cmp_lt_f32_e64 s5, v2, v4
	v_cndmask_b32_e64 v2, v4, v2, s5
	ds_bpermute_b32 v2, v23, v2
.LBB3_129:                              ;   in Loop: Header=BB3_17 Depth=1
	s_or_b32 exec_lo, exec_lo, s30
	v_mov_b32_dpp v4, v1 quad_perm:[1,0,3,2] row_mask:0xf bank_mask:0xf
	s_delay_alu instid0(VALU_DEP_1) | instskip(NEXT) | instid1(VALU_DEP_1)
	v_cmp_gt_f32_e64 s5, v1, v4
	v_cndmask_b32_e64 v1, v4, v1, s5
	s_delay_alu instid0(VALU_DEP_1) | instskip(NEXT) | instid1(VALU_DEP_1)
	v_mov_b32_dpp v4, v1 quad_perm:[2,3,0,1] row_mask:0xf bank_mask:0xf
	v_cmp_gt_f32_e64 s5, v1, v4
	s_delay_alu instid0(VALU_DEP_1) | instskip(NEXT) | instid1(VALU_DEP_1)
	v_cndmask_b32_e64 v1, v4, v1, s5
	v_mov_b32_dpp v4, v1 row_ror:4 row_mask:0xf bank_mask:0xf
	s_delay_alu instid0(VALU_DEP_1) | instskip(NEXT) | instid1(VALU_DEP_1)
	v_cmp_gt_f32_e64 s5, v1, v4
	v_cndmask_b32_e64 v1, v4, v1, s5
	s_delay_alu instid0(VALU_DEP_1) | instskip(NEXT) | instid1(VALU_DEP_1)
	v_mov_b32_dpp v4, v1 row_ror:8 row_mask:0xf bank_mask:0xf
	v_cmp_gt_f32_e64 s5, v1, v4
	s_delay_alu instid0(VALU_DEP_1) | instskip(SKIP_3) | instid1(VALU_DEP_1)
	v_cndmask_b32_e64 v1, v4, v1, s5
	ds_swizzle_b32 v4, v1 offset:swizzle(BROADCAST,32,15)
	s_wait_dscnt 0x0
	v_cmp_gt_f32_e64 s5, v1, v4
	v_cndmask_b32_e64 v1, v4, v1, s5
	ds_bpermute_b32 v1, v23, v1
	s_and_saveexec_b32 s5, vcc_lo
	s_cbranch_execz .LBB3_131
; %bb.130:                              ;   in Loop: Header=BB3_17 Depth=1
	s_wait_dscnt 0x0
	ds_store_b32 v13, v1
.LBB3_131:                              ;   in Loop: Header=BB3_17 Depth=1
	s_or_b32 exec_lo, exec_lo, s5
	s_wait_dscnt 0x0
	s_barrier_signal -1
	s_barrier_wait -1
	s_and_saveexec_b32 s5, s0
	s_cbranch_execz .LBB3_133
; %bb.132:                              ;   in Loop: Header=BB3_17 Depth=1
	ds_load_b32 v1, v3 offset:25472
	s_wait_dscnt 0x0
	v_mov_b32_dpp v3, v1 quad_perm:[1,0,3,2] row_mask:0xf bank_mask:0xf
	s_delay_alu instid0(VALU_DEP_1) | instskip(SKIP_1) | instid1(VALU_DEP_1)
	v_cmp_gt_f32_e32 vcc_lo, v1, v3
	v_cndmask_b32_e32 v1, v3, v1, vcc_lo
	v_mov_b32_dpp v3, v1 quad_perm:[2,3,0,1] row_mask:0xf bank_mask:0xf
	s_delay_alu instid0(VALU_DEP_1) | instskip(SKIP_1) | instid1(VALU_DEP_1)
	v_cmp_gt_f32_e32 vcc_lo, v1, v3
	v_cndmask_b32_e32 v1, v3, v1, vcc_lo
	v_mov_b32_dpp v3, v1 row_ror:4 row_mask:0xf bank_mask:0xf
	s_delay_alu instid0(VALU_DEP_1) | instskip(SKIP_1) | instid1(VALU_DEP_1)
	v_cmp_gt_f32_e32 vcc_lo, v1, v3
	v_cndmask_b32_e32 v1, v3, v1, vcc_lo
	v_mov_b32_dpp v3, v1 row_ror:8 row_mask:0xf bank_mask:0xf
	s_delay_alu instid0(VALU_DEP_1)
	v_cmp_gt_f32_e32 vcc_lo, v1, v3
	v_cndmask_b32_e32 v1, v3, v1, vcc_lo
	ds_swizzle_b32 v3, v1 offset:swizzle(BROADCAST,32,15)
	s_wait_dscnt 0x0
	v_cmp_gt_f32_e32 vcc_lo, v1, v3
	v_cndmask_b32_e32 v1, v3, v1, vcc_lo
	ds_bpermute_b32 v1, v23, v1
.LBB3_133:                              ;   in Loop: Header=BB3_17 Depth=1
	s_or_b32 exec_lo, exec_lo, s5
	s_and_saveexec_b32 s5, s3
	s_cbranch_execz .LBB3_135
; %bb.134:                              ;   in Loop: Header=BB3_17 Depth=1
	v_cmp_gt_f32_e32 vcc_lo, 0, v2
	v_cndmask_b32_e64 v3, 0x7ffff800, 0, vcc_lo
	s_wait_dscnt 0x0
	v_cmp_gt_f32_e32 vcc_lo, 0, v1
	v_cndmask_b32_e64 v4, 0x7ffff800, 0, vcc_lo
	s_delay_alu instid0(VALU_DEP_1) | instskip(NEXT) | instid1(VALU_DEP_1)
	v_xor_b32_e32 v3, v3, v4
	v_xor3_b32 v1, v3, v2, v1
	s_delay_alu instid0(VALU_DEP_1)
	v_cmp_gt_u32_e32 vcc_lo, 0x800, v1
	v_cndmask_b32_e64 v1, 0, 1, vcc_lo
	ds_store_b8 v12, v1 offset:25600
.LBB3_135:                              ;   in Loop: Header=BB3_17 Depth=1
	s_or_b32 exec_lo, exec_lo, s5
	s_wait_dscnt 0x0
	s_barrier_signal -1
	s_barrier_wait -1
	ds_load_u8 v1, v12 offset:25600
	s_wait_dscnt 0x0
	v_readfirstlane_b32 s5, v1
	s_bitcmp1_b32 s5, 0
	s_cselect_b32 s34, -1, 0
.LBB3_136:                              ;   in Loop: Header=BB3_17 Depth=1
	s_delay_alu instid0(SALU_CYCLE_1)
	s_and_b32 s5, s34, exec_lo
	s_cselect_b32 s5, 0x800, 0
	s_wait_storecnt_dscnt 0x0
	v_dual_mov_b32 v3, s19 :: v_dual_bitop2_b32 v1, s5, v0 bitop3:0x54
	s_barrier_signal -1
	s_barrier_wait -1
	s_delay_alu instid0(VALU_DEP_1) | instskip(NEXT) | instid1(VALU_DEP_1)
	v_dual_lshlrev_b32 v1, 2, v1 :: v_dual_mov_b32 v5, s19
	v_add_nc_u32_e32 v2, 0x280, v1
	v_add_nc_u32_e32 v4, 0x1280, v1
	flat_load_b32 v1, v[2:3] scope:SCOPE_SYS
	s_wait_loadcnt 0x0
	flat_load_b32 v6, v[4:5] scope:SCOPE_SYS
	s_wait_loadcnt_dscnt 0x1
	ds_store_b32 v10, v1
	s_wait_dscnt 0x1
	ds_store_b32 v11, v6 offset:4096
	s_wait_dscnt 0x0
	s_barrier_signal -1
	s_barrier_wait -1
	ds_load_2addr_b32 v[6:7], v25 offset1:1
	s_wait_dscnt 0x0
	s_barrier_signal -1
	s_barrier_wait -1
	v_add_nc_u32_e32 v1, v7, v6
	ds_store_b32 v10, v1
	s_wait_dscnt 0x0
	s_barrier_signal -1
	s_barrier_wait -1
	s_and_saveexec_b32 s30, s0
	s_cbranch_execz .LBB3_138
; %bb.137:                              ;   in Loop: Header=BB3_17 Depth=1
	ds_load_2addr_b32 v[26:27], v14 offset1:1
	ds_load_2addr_b32 v[28:29], v14 offset0:2 offset1:3
	ds_load_2addr_b32 v[30:31], v14 offset0:4 offset1:5
	;; [unrolled: 1-line block ×5, first 2 shown]
	s_wait_dscnt 0x5
	v_dual_add_nc_u32 v8, v27, v26 :: v_dual_bitop2_b32 v27, 15, v24 bitop3:0x40
	s_wait_dscnt 0x4
	s_delay_alu instid0(VALU_DEP_1)
	v_add3_u32 v8, v8, v28, v29
	ds_load_2addr_b32 v[28:29], v14 offset0:12 offset1:13
	v_cmp_ne_u32_e32 vcc_lo, 0, v27
	s_wait_dscnt 0x4
	v_add3_u32 v8, v8, v30, v31
	ds_load_2addr_b32 v[30:31], v14 offset0:14 offset1:15
	s_wait_dscnt 0x4
	v_add3_u32 v8, v8, v32, v33
	ds_load_2addr_b32 v[32:33], v14 offset0:16 offset1:17
	s_wait_dscnt 0x4
	v_add3_u32 v8, v8, v34, v35
	s_wait_dscnt 0x3
	s_delay_alu instid0(VALU_DEP_1)
	v_add3_u32 v8, v8, v36, v37
	ds_load_2addr_b32 v[34:35], v14 offset0:18 offset1:19
	ds_load_2addr_b32 v[36:37], v14 offset0:20 offset1:21
	s_wait_dscnt 0x4
	v_add3_u32 v8, v8, v28, v29
	ds_load_2addr_b32 v[28:29], v14 offset0:22 offset1:23
	s_wait_dscnt 0x4
	v_add3_u32 v8, v8, v30, v31
	;; [unrolled: 3-line block ×4, first 2 shown]
	s_wait_dscnt 0x3
	s_delay_alu instid0(VALU_DEP_1)
	v_add3_u32 v8, v8, v36, v37
	ds_load_2addr_b32 v[34:35], v14 offset0:28 offset1:29
	ds_load_2addr_b32 v[36:37], v14 offset0:30 offset1:31
	; wave barrier
	s_wait_dscnt 0x4
	v_add3_u32 v8, v8, v28, v29
	v_bfe_i32 v29, v24, 4, 1
	s_wait_dscnt 0x3
	s_delay_alu instid0(VALU_DEP_2) | instskip(SKIP_1) | instid1(VALU_DEP_1)
	v_add3_u32 v8, v8, v30, v31
	s_wait_dscnt 0x2
	v_add3_u32 v8, v8, v32, v33
	s_wait_dscnt 0x1
	s_delay_alu instid0(VALU_DEP_1) | instskip(SKIP_1) | instid1(VALU_DEP_1)
	v_add3_u32 v8, v8, v34, v35
	s_wait_dscnt 0x0
	v_add3_u32 v8, v8, v36, v37
	s_delay_alu instid0(VALU_DEP_1) | instskip(NEXT) | instid1(VALU_DEP_1)
	v_mov_b32_dpp v28, v8 row_shr:1 row_mask:0xf bank_mask:0xf
	v_cndmask_b32_e32 v28, 0, v28, vcc_lo
	v_cmp_lt_u32_e32 vcc_lo, 1, v27
	s_delay_alu instid0(VALU_DEP_2) | instskip(NEXT) | instid1(VALU_DEP_1)
	v_add_nc_u32_e32 v8, v28, v8
	v_mov_b32_dpp v28, v8 row_shr:2 row_mask:0xf bank_mask:0xf
	s_delay_alu instid0(VALU_DEP_1) | instskip(SKIP_1) | instid1(VALU_DEP_2)
	v_cndmask_b32_e32 v28, 0, v28, vcc_lo
	v_cmp_lt_u32_e32 vcc_lo, 3, v27
	v_add_nc_u32_e32 v8, v8, v28
	s_delay_alu instid0(VALU_DEP_1) | instskip(NEXT) | instid1(VALU_DEP_1)
	v_mov_b32_dpp v28, v8 row_shr:4 row_mask:0xf bank_mask:0xf
	v_cndmask_b32_e32 v28, 0, v28, vcc_lo
	v_cmp_lt_u32_e32 vcc_lo, 7, v27
	s_delay_alu instid0(VALU_DEP_2) | instskip(NEXT) | instid1(VALU_DEP_1)
	v_add_nc_u32_e32 v8, v8, v28
	v_mov_b32_dpp v28, v8 row_shr:8 row_mask:0xf bank_mask:0xf
	s_delay_alu instid0(VALU_DEP_1) | instskip(NEXT) | instid1(VALU_DEP_1)
	v_cndmask_b32_e32 v27, 0, v28, vcc_lo
	v_dual_add_nc_u32 v28, -1, v24 :: v_dual_add_nc_u32 v8, v8, v27
	s_delay_alu instid0(VALU_DEP_1) | instskip(SKIP_3) | instid1(VALU_DEP_1)
	v_cmp_gt_i32_e32 vcc_lo, 0, v28
	ds_swizzle_b32 v27, v8 offset:swizzle(BROADCAST,32,15)
	v_cndmask_b32_e32 v28, v28, v24, vcc_lo
	s_wait_dscnt 0x0
	v_dual_lshlrev_b32 v28, 2, v28 :: v_dual_bitop2_b32 v27, v29, v27 bitop3:0x40
	s_delay_alu instid0(VALU_DEP_1) | instskip(SKIP_3) | instid1(VALU_DEP_1)
	v_add_nc_u32_e32 v8, v8, v27
	ds_bpermute_b32 v8, v28, v8
	s_wait_dscnt 0x0
	v_add_nc_u32_e32 v8, v8, v26
	v_cndmask_b32_e64 v8, v8, v1, s3
	ds_store_b32 v14, v8
	; wave barrier
	ds_load_2addr_b32 v[26:27], v14 offset0:1 offset1:2
	ds_load_2addr_b32 v[28:29], v14 offset0:3 offset1:4
	;; [unrolled: 1-line block ×4, first 2 shown]
	s_wait_dscnt 0x3
	v_add_nc_u32_e32 v8, v26, v8
	s_delay_alu instid0(VALU_DEP_1) | instskip(SKIP_3) | instid1(VALU_DEP_1)
	v_add_nc_u32_e32 v34, v27, v8
	ds_load_2addr_b32 v[26:27], v14 offset0:9 offset1:10
	s_wait_dscnt 0x3
	v_add_nc_u32_e32 v35, v28, v34
	v_add_nc_u32_e32 v36, v29, v35
	ds_load_2addr_b32 v[28:29], v14 offset0:11 offset1:12
	s_wait_dscnt 0x3
	v_add_nc_u32_e32 v37, v30, v36
	s_delay_alu instid0(VALU_DEP_1) | instskip(SKIP_1) | instid1(VALU_DEP_1)
	v_add_nc_u32_e32 v38, v31, v37
	s_wait_dscnt 0x2
	v_add_nc_u32_e32 v39, v32, v38
	s_delay_alu instid0(VALU_DEP_1) | instskip(SKIP_4) | instid1(VALU_DEP_1)
	v_add_nc_u32_e32 v40, v33, v39
	ds_load_2addr_b32 v[30:31], v14 offset0:13 offset1:14
	ds_load_2addr_b32 v[32:33], v14 offset0:15 offset1:16
	s_wait_dscnt 0x3
	v_add_nc_u32_e32 v41, v26, v40
	v_add_nc_u32_e32 v42, v27, v41
	ds_load_2addr_b32 v[26:27], v14 offset0:17 offset1:18
	s_wait_dscnt 0x3
	v_add_nc_u32_e32 v43, v28, v42
	s_delay_alu instid0(VALU_DEP_1) | instskip(SKIP_3) | instid1(VALU_DEP_1)
	v_add_nc_u32_e32 v44, v29, v43
	ds_load_2addr_b32 v[28:29], v14 offset0:19 offset1:20
	s_wait_dscnt 0x3
	v_add_nc_u32_e32 v45, v30, v44
	v_add_nc_u32_e32 v46, v31, v45
	s_wait_dscnt 0x2
	s_delay_alu instid0(VALU_DEP_1) | instskip(NEXT) | instid1(VALU_DEP_1)
	v_add_nc_u32_e32 v47, v32, v46
	v_add_nc_u32_e32 v48, v33, v47
	ds_load_2addr_b32 v[30:31], v14 offset0:21 offset1:22
	ds_load_2addr_b32 v[32:33], v14 offset0:23 offset1:24
	s_wait_dscnt 0x3
	v_add_nc_u32_e32 v49, v26, v48
	s_delay_alu instid0(VALU_DEP_1) | instskip(SKIP_3) | instid1(VALU_DEP_1)
	v_add_nc_u32_e32 v50, v27, v49
	ds_load_2addr_b32 v[26:27], v14 offset0:25 offset1:26
	s_wait_dscnt 0x3
	v_add_nc_u32_e32 v51, v28, v50
	v_add_nc_u32_e32 v52, v29, v51
	ds_load_2addr_b32 v[28:29], v14 offset0:27 offset1:28
	s_wait_dscnt 0x3
	v_add_nc_u32_e32 v53, v30, v52
	s_delay_alu instid0(VALU_DEP_1)
	v_add_nc_u32_e32 v54, v31, v53
	ds_load_2addr_b32 v[30:31], v14 offset0:29 offset1:30
	ds_load_b32 v55, v14 offset:124
	ds_store_2addr_b32 v14, v8, v34 offset0:1 offset1:2
	ds_store_2addr_b32 v14, v35, v36 offset0:3 offset1:4
	;; [unrolled: 1-line block ×8, first 2 shown]
	s_wait_dscnt 0xc
	v_add_nc_u32_e32 v32, v32, v54
	s_delay_alu instid0(VALU_DEP_1) | instskip(SKIP_1) | instid1(VALU_DEP_1)
	v_add_nc_u32_e32 v33, v33, v32
	s_wait_dscnt 0xb
	v_add_nc_u32_e32 v26, v26, v33
	s_delay_alu instid0(VALU_DEP_1) | instskip(SKIP_1) | instid1(VALU_DEP_1)
	v_add_nc_u32_e32 v27, v27, v26
	;; [unrolled: 4-line block ×4, first 2 shown]
	s_wait_dscnt 0x8
	v_add_nc_u32_e32 v31, v55, v8
	ds_store_2addr_b32 v14, v49, v50 offset0:17 offset1:18
	ds_store_2addr_b32 v14, v51, v52 offset0:19 offset1:20
	;; [unrolled: 1-line block ×7, first 2 shown]
	ds_store_b32 v14, v31 offset:124
.LBB3_138:                              ;   in Loop: Header=BB3_17 Depth=1
	s_or_b32 exec_lo, exec_lo, s30
	v_mov_b32_e32 v8, v6
	s_wait_dscnt 0x0
	s_barrier_signal -1
	s_barrier_wait -1
	s_and_saveexec_b32 s30, s2
	s_cbranch_execz .LBB3_140
; %bb.139:                              ;   in Loop: Header=BB3_17 Depth=1
	ds_load_b32 v1, v15
	;;#ASMSTART
	;;#ASMEND
	s_wait_dscnt 0x0
	v_add_nc_u32_e32 v8, v1, v6
	s_delay_alu instid0(VALU_DEP_1)
	v_add_nc_u32_e32 v1, v8, v7
.LBB3_140:                              ;   in Loop: Header=BB3_17 Depth=1
	s_or_b32 exec_lo, exec_lo, s30
	s_barrier_signal -1
	s_barrier_wait -1
	ds_store_2addr_b32 v25, v8, v1 offset1:1
	s_wait_dscnt 0x0
	s_barrier_signal -1
	s_barrier_wait -1
	ds_load_b32 v1, v10
	ds_load_b32 v6, v11 offset:4096
	s_and_b32 s30, s34, exec_lo
	s_cselect_b32 s30, 3, 0
	s_wait_dscnt 0x1
	flat_store_b32 v[2:3], v1 scope:SCOPE_SYS
	s_wait_storecnt_dscnt 0x1
	flat_store_b32 v[4:5], v6 scope:SCOPE_SYS
	s_wait_storecnt_dscnt 0x0
	s_barrier_signal -1
	s_barrier_wait -1
	s_wait_xcnt 0x1
	ds_load_b32 v1, v12 offset:12
	s_add_co_i32 s30, s30, s21
	v_lshl_add_u32 v2, s5, 2, v20
	s_mul_i32 s30, s30, -11
	v_mov_b32_e32 v3, v0
	s_max_i32 s31, s30, 0xffffffeb
	s_mov_b32 s30, 0
	s_add_co_i32 s31, s31, 21
	s_branch .LBB3_142
.LBB3_141:                              ;   in Loop: Header=BB3_142 Depth=2
	s_or_b32 exec_lo, exec_lo, s5
	v_dual_add_nc_u32 v3, s7, v3 :: v_dual_add_nc_u32 v2, s41, v2
	s_delay_alu instid0(VALU_DEP_1) | instskip(SKIP_1) | instid1(SALU_CYCLE_1)
	v_cmp_lt_u32_e32 vcc_lo, 0x7ff, v3
	s_or_b32 s30, vcc_lo, s30
	s_and_not1_b32 exec_lo, exec_lo, s30
	s_cbranch_execz .LBB3_146
.LBB3_142:                              ;   Parent Loop BB3_17 Depth=1
                                        ; =>  This Inner Loop Header: Depth=2
	s_wait_xcnt 0x0
	v_mov_b32_e32 v4, 0
	s_mov_b32 s5, exec_lo
	v_cmpx_ne_u32_e32 0, v3
; %bb.143:                              ;   in Loop: Header=BB3_142 Depth=2
	ds_load_b32 v4, v2
; %bb.144:                              ;   in Loop: Header=BB3_142 Depth=2
	s_or_b32 exec_lo, exec_lo, s5
	ds_load_b32 v5, v2 offset:4
	s_wait_dscnt 0x1
	v_cmp_gt_i32_e32 vcc_lo, s42, v4
	s_wait_dscnt 0x0
	v_cmp_le_i32_e64 s5, s42, v5
	s_and_b32 s35, vcc_lo, s5
	s_delay_alu instid0(SALU_CYCLE_1)
	s_and_saveexec_b32 s5, s35
	s_cbranch_execz .LBB3_141
; %bb.145:                              ;   in Loop: Header=BB3_142 Depth=2
	v_dual_sub_nc_u32 v5, v5, v4 :: v_dual_sub_nc_u32 v4, s42, v4
	v_lshl_or_b32 v1, v3, s31, v1
	ds_store_b64 v12, v[4:5]
	ds_store_b32 v12, v1 offset:12
	s_branch .LBB3_141
.LBB3_146:                              ;   in Loop: Header=BB3_17 Depth=1
	s_or_b32 exec_lo, exec_lo, s30
	s_and_saveexec_b32 s5, s3
; %bb.147:                              ;   in Loop: Header=BB3_17 Depth=1
	v_mov_b32_e32 v1, s38
	ds_store_b32 v12, v1 offset:8
; %bb.148:                              ;   in Loop: Header=BB3_17 Depth=1
	s_or_b32 exec_lo, exec_lo, s5
	s_cmp_lg_u32 s21, 2
	s_wait_dscnt 0x0
	s_cselect_b32 s5, -1, 0
	s_xor_b32 s30, s34, -1
	s_barrier_signal -1
	s_and_b32 s30, s5, s30
	s_mov_b32 s5, -1
	s_and_b32 vcc_lo, exec_lo, s30
	s_mov_b32 s30, -1
	s_barrier_wait -1
                                        ; implicit-def: $vgpr3
	s_cbranch_vccz .LBB3_16
; %bb.149:                              ;   in Loop: Header=BB3_17 Depth=1
	ds_load_b64 v[2:3], v12
	s_add_co_i32 s21, s21, 1
	s_mov_b32 s5, 0
	s_wait_dscnt 0x0
	v_cmp_eq_u32_e64 s30, v3, v2
	s_branch .LBB3_16
.LBB3_150:
	s_and_not1_b32 vcc_lo, exec_lo, s5
	s_mov_b32 s0, -1
	s_cbranch_vccz .LBB3_190
; %bb.151:
	v_mov_b32_e32 v1, 0
	s_and_b32 s0, s39, exec_lo
	s_cselect_b32 s0, 0, s12
	s_cselect_b32 s1, 0, s13
	s_cmp_eq_u64 s[16:17], 0
	ds_load_b32 v1, v1 offset:12
	s_cselect_b32 s5, s11, s1
	s_cselect_b32 s1, s33, s38
	;; [unrolled: 1-line block ×3, first 2 shown]
	v_cmp_gt_i32_e64 s0, s1, v0
	s_cselect_b32 s3, s9, s17
	s_cselect_b32 s2, s8, s16
	s_cmp_eq_u64 s[4:5], 0
	s_cbranch_scc1 .LBB3_170
; %bb.152:
	s_and_saveexec_b32 s19, s0
	s_cbranch_execz .LBB3_169
; %bb.153:
	v_dual_mov_b32 v2, 0 :: v_dual_mov_b32 v4, v0
	s_lshl_b32 s20, -1, s18
	s_mov_b32 s21, 0
	s_branch .LBB3_155
.LBB3_154:                              ;   in Loop: Header=BB3_155 Depth=1
	s_wait_xcnt 0x0
	s_or_b32 exec_lo, exec_lo, s22
	v_add_nc_u32_e32 v4, s7, v4
	s_delay_alu instid0(VALU_DEP_1) | instskip(SKIP_1) | instid1(SALU_CYCLE_1)
	v_cmp_le_i32_e32 vcc_lo, s1, v4
	s_or_b32 s21, vcc_lo, s21
	s_and_not1_b32 exec_lo, exec_lo, s21
	s_cbranch_execz .LBB3_169
.LBB3_155:                              ; =>This Inner Loop Header: Depth=1
	global_load_b32 v5, v4, s[2:3] scale_offset
	s_mov_b32 s23, 0
	s_mov_b32 s22, exec_lo
                                        ; implicit-def: $vgpr7
	s_wait_loadcnt 0x0
	v_cmp_gt_f32_e32 vcc_lo, 0, v5
	v_cndmask_b32_e64 v6, 0x7fffffff, 0, vcc_lo
	s_delay_alu instid0(VALU_DEP_1) | instskip(SKIP_3) | instid1(VALU_DEP_2)
	v_bitop3_b32 v8, v6, s20, v5 bitop3:0x48
	v_ashrrev_i32_e32 v5, 31, v4
                                        ; implicit-def: $vgpr6
	s_wait_dscnt 0x0
	s_wait_xcnt 0x0
	v_cmpx_ge_u32_e64 v8, v1
	s_xor_b32 s22, exec_lo, s22
	s_cbranch_execnz .LBB3_158
; %bb.156:                              ;   in Loop: Header=BB3_155 Depth=1
	s_and_not1_saveexec_b32 s22, s22
	s_cbranch_execnz .LBB3_165
.LBB3_157:                              ;   in Loop: Header=BB3_155 Depth=1
	s_or_b32 exec_lo, exec_lo, s22
	s_and_saveexec_b32 s22, s23
	s_cbranch_execz .LBB3_154
	s_branch .LBB3_168
.LBB3_158:                              ;   in Loop: Header=BB3_155 Depth=1
	s_mov_b32 s24, 0
	s_mov_b32 s23, exec_lo
                                        ; implicit-def: $vgpr6
                                        ; implicit-def: $vgpr7
	v_cmpx_eq_u32_e64 v8, v1
	s_cbranch_execz .LBB3_164
; %bb.159:                              ;   in Loop: Header=BB3_155 Depth=1
	v_lshl_add_u64 v[6:7], v[4:5], 2, s[4:5]
	s_mov_b32 s24, exec_lo
	s_mov_b32 s25, exec_lo
                                        ; implicit-def: $vgpr8
	global_load_b32 v6, v[6:7], off
	s_wait_xcnt 0x0
	v_mbcnt_lo_u32_b32 v7, s24, 0
	s_delay_alu instid0(VALU_DEP_1)
	v_cmpx_eq_u32_e32 0, v7
; %bb.160:                              ;   in Loop: Header=BB3_155 Depth=1
	s_bcnt1_i32_b32 s24, s24
	s_delay_alu instid0(SALU_CYCLE_1)
	v_mov_b32_e32 v8, s24
	ds_add_rtn_u32 v8, v2, v8 offset:512
; %bb.161:                              ;   in Loop: Header=BB3_155 Depth=1
	s_or_b32 exec_lo, exec_lo, s25
	s_wait_dscnt 0x0
	v_readfirstlane_b32 s24, v8
	s_mov_b32 s25, exec_lo
	v_add_nc_u32_e32 v8, s24, v7
	s_mov_b32 s24, 0
                                        ; implicit-def: $vgpr7
	s_delay_alu instid0(VALU_DEP_1)
	v_cmpx_lt_i32_e64 v8, v3
	s_xor_b32 s25, exec_lo, s25
; %bb.162:                              ;   in Loop: Header=BB3_155 Depth=1
	v_xad_u32 v7, v8, -1, s6
	s_mov_b32 s24, exec_lo
; %bb.163:                              ;   in Loop: Header=BB3_155 Depth=1
	s_or_b32 exec_lo, exec_lo, s25
	s_delay_alu instid0(SALU_CYCLE_1)
	s_and_b32 s24, s24, exec_lo
.LBB3_164:                              ;   in Loop: Header=BB3_155 Depth=1
	s_or_b32 exec_lo, exec_lo, s23
	s_delay_alu instid0(SALU_CYCLE_1)
	s_and_b32 s23, s24, exec_lo
	s_and_not1_saveexec_b32 s22, s22
	s_cbranch_execz .LBB3_157
.LBB3_165:                              ;   in Loop: Header=BB3_155 Depth=1
	s_mov_b32 s25, exec_lo
	s_mov_b32 s24, exec_lo
	v_mbcnt_lo_u32_b32 v7, s25, 0
                                        ; implicit-def: $vgpr8
	s_delay_alu instid0(VALU_DEP_1)
	v_cmpx_eq_u32_e32 0, v7
	s_cbranch_execz .LBB3_167
; %bb.166:                              ;   in Loop: Header=BB3_155 Depth=1
	s_bcnt1_i32_b32 s25, s25
	s_wait_loadcnt 0x0
	v_mov_b32_e32 v6, s25
	ds_add_rtn_u32 v8, v2, v6 offset:384
.LBB3_167:                              ;   in Loop: Header=BB3_155 Depth=1
	s_or_b32 exec_lo, exec_lo, s24
	v_lshl_add_u64 v[10:11], v[4:5], 2, s[4:5]
	s_wait_dscnt 0x0
	v_readfirstlane_b32 s24, v8
	s_or_b32 s23, s23, exec_lo
	s_wait_loadcnt 0x0
	global_load_b32 v6, v[10:11], off
	v_add_nc_u32_e32 v7, s24, v7
	s_wait_xcnt 0x0
	s_or_b32 exec_lo, exec_lo, s22
	s_and_saveexec_b32 s22, s23
	s_cbranch_execz .LBB3_154
.LBB3_168:                              ;   in Loop: Header=BB3_155 Depth=1
	s_wait_loadcnt 0x0
	global_store_b32 v7, v6, s[14:15] scale_offset
	s_branch .LBB3_154
.LBB3_169:
	s_or_b32 exec_lo, exec_lo, s19
	s_cbranch_execz .LBB3_171
	s_branch .LBB3_189
.LBB3_170:
.LBB3_171:
	s_and_saveexec_b32 s4, s0
	s_cbranch_execz .LBB3_188
; %bb.172:
	v_dual_mov_b32 v2, 0 :: v_dual_mov_b32 v4, v0
	s_lshl_b32 s0, -1, s18
	s_mov_b32 s5, 0
	s_branch .LBB3_174
.LBB3_173:                              ;   in Loop: Header=BB3_174 Depth=1
	s_wait_xcnt 0x0
	s_or_b32 exec_lo, exec_lo, s19
	v_add_nc_u32_e32 v4, s7, v4
	s_delay_alu instid0(VALU_DEP_1) | instskip(SKIP_1) | instid1(SALU_CYCLE_1)
	v_cmp_le_i32_e32 vcc_lo, s1, v4
	s_or_b32 s5, vcc_lo, s5
	s_and_not1_b32 exec_lo, exec_lo, s5
	s_cbranch_execz .LBB3_188
.LBB3_174:                              ; =>This Inner Loop Header: Depth=1
	global_load_b32 v5, v4, s[2:3] scale_offset
	s_mov_b32 s20, 0
	s_mov_b32 s19, exec_lo
	s_wait_loadcnt 0x0
	v_cmp_gt_f32_e32 vcc_lo, 0, v5
	v_cndmask_b32_e64 v6, 0x7fffffff, 0, vcc_lo
	s_delay_alu instid0(VALU_DEP_1) | instskip(SKIP_2) | instid1(VALU_DEP_1)
	v_bitop3_b32 v6, v6, s0, v5 bitop3:0x48
                                        ; implicit-def: $vgpr5
	s_wait_dscnt 0x0
	s_wait_xcnt 0x0
	v_cmpx_ge_u32_e64 v6, v1
	s_xor_b32 s19, exec_lo, s19
	s_cbranch_execnz .LBB3_177
; %bb.175:                              ;   in Loop: Header=BB3_174 Depth=1
	s_and_not1_saveexec_b32 s19, s19
	s_cbranch_execnz .LBB3_184
.LBB3_176:                              ;   in Loop: Header=BB3_174 Depth=1
	s_or_b32 exec_lo, exec_lo, s19
	s_and_saveexec_b32 s19, s20
	s_cbranch_execz .LBB3_173
	s_branch .LBB3_187
.LBB3_177:                              ;   in Loop: Header=BB3_174 Depth=1
	s_mov_b32 s21, 0
	s_mov_b32 s20, exec_lo
                                        ; implicit-def: $vgpr5
	v_cmpx_eq_u32_e64 v6, v1
	s_cbranch_execz .LBB3_183
; %bb.178:                              ;   in Loop: Header=BB3_174 Depth=1
	s_mov_b32 s22, exec_lo
	s_mov_b32 s21, exec_lo
	v_mbcnt_lo_u32_b32 v5, s22, 0
                                        ; implicit-def: $vgpr6
	s_delay_alu instid0(VALU_DEP_1)
	v_cmpx_eq_u32_e32 0, v5
; %bb.179:                              ;   in Loop: Header=BB3_174 Depth=1
	s_bcnt1_i32_b32 s22, s22
	s_delay_alu instid0(SALU_CYCLE_1)
	v_mov_b32_e32 v6, s22
	ds_add_rtn_u32 v6, v2, v6 offset:512
; %bb.180:                              ;   in Loop: Header=BB3_174 Depth=1
	s_or_b32 exec_lo, exec_lo, s21
	s_wait_dscnt 0x0
	v_readfirstlane_b32 s21, v6
	s_mov_b32 s22, exec_lo
	v_add_nc_u32_e32 v6, s21, v5
	s_mov_b32 s21, 0
                                        ; implicit-def: $vgpr5
	s_delay_alu instid0(VALU_DEP_1)
	v_cmpx_lt_i32_e64 v6, v3
	s_xor_b32 s22, exec_lo, s22
; %bb.181:                              ;   in Loop: Header=BB3_174 Depth=1
	v_xad_u32 v5, v6, -1, s6
	s_mov_b32 s21, exec_lo
; %bb.182:                              ;   in Loop: Header=BB3_174 Depth=1
	s_or_b32 exec_lo, exec_lo, s22
	s_delay_alu instid0(SALU_CYCLE_1)
	s_and_b32 s21, s21, exec_lo
.LBB3_183:                              ;   in Loop: Header=BB3_174 Depth=1
	s_or_b32 exec_lo, exec_lo, s20
	s_delay_alu instid0(SALU_CYCLE_1)
	s_and_b32 s20, s21, exec_lo
	s_and_not1_saveexec_b32 s19, s19
	s_cbranch_execz .LBB3_176
.LBB3_184:                              ;   in Loop: Header=BB3_174 Depth=1
	s_mov_b32 s22, exec_lo
	s_mov_b32 s21, exec_lo
	v_mbcnt_lo_u32_b32 v5, s22, 0
                                        ; implicit-def: $vgpr6
	s_delay_alu instid0(VALU_DEP_1)
	v_cmpx_eq_u32_e32 0, v5
; %bb.185:                              ;   in Loop: Header=BB3_174 Depth=1
	s_bcnt1_i32_b32 s22, s22
	s_delay_alu instid0(SALU_CYCLE_1)
	v_mov_b32_e32 v6, s22
	ds_add_rtn_u32 v6, v2, v6 offset:384
; %bb.186:                              ;   in Loop: Header=BB3_174 Depth=1
	s_or_b32 exec_lo, exec_lo, s21
	s_wait_dscnt 0x0
	v_readfirstlane_b32 s21, v6
	s_or_b32 s20, s20, exec_lo
	v_add_nc_u32_e32 v5, s21, v5
	s_or_b32 exec_lo, exec_lo, s19
	s_and_saveexec_b32 s19, s20
	s_cbranch_execz .LBB3_173
.LBB3_187:                              ;   in Loop: Header=BB3_174 Depth=1
	global_store_b32 v5, v4, s[14:15] scale_offset
	s_branch .LBB3_173
.LBB3_188:
	s_or_b32 exec_lo, exec_lo, s4
.LBB3_189:
	s_mov_b32 s0, 0
.LBB3_190:
	s_delay_alu instid0(SALU_CYCLE_1)
	s_and_not1_b32 vcc_lo, exec_lo, s0
	s_cbranch_vccnz .LBB3_236
; %bb.191:
	s_wait_dscnt 0x0
	v_mov_b32_e32 v1, 0
	s_xor_b32 s19, s34, -1
	s_and_b32 s0, s39, exec_lo
	s_cselect_b32 s0, 0, s12
	s_cselect_b32 s1, 0, s13
	ds_load_2addr_b32 v[2:3], v1 offset1:3
	s_cmp_eq_u64 s[16:17], 0
	s_cselect_b32 s3, s9, s17
	s_cselect_b32 s9, s33, s38
	;; [unrolled: 1-line block ×3, first 2 shown]
	v_cmp_gt_i32_e64 s0, s9, v0
	s_cselect_b32 s5, s11, s1
	s_cselect_b32 s2, s8, s16
	s_cmp_eq_u64 s[4:5], 0
	s_cbranch_scc1 .LBB3_214
; %bb.192:
	s_and_saveexec_b32 s8, s0
	s_cbranch_execz .LBB3_213
; %bb.193:
	v_dual_mov_b32 v1, 0 :: v_dual_mov_b32 v4, v0
	s_lshl_b32 s10, -1, s18
	s_mov_b32 s11, 0
	s_branch .LBB3_195
.LBB3_194:                              ;   in Loop: Header=BB3_195 Depth=1
	s_wait_xcnt 0x0
	s_or_b32 exec_lo, exec_lo, s1
	v_add_nc_u32_e32 v4, s7, v4
	s_delay_alu instid0(VALU_DEP_1) | instskip(SKIP_1) | instid1(SALU_CYCLE_1)
	v_cmp_le_i32_e32 vcc_lo, s9, v4
	s_or_b32 s11, vcc_lo, s11
	s_and_not1_b32 exec_lo, exec_lo, s11
	s_cbranch_execz .LBB3_213
.LBB3_195:                              ; =>This Inner Loop Header: Depth=1
	global_load_b32 v5, v4, s[2:3] scale_offset
	s_and_b32 vcc_lo, exec_lo, s19
	s_mov_b32 s12, -1
                                        ; implicit-def: $vgpr8
	s_wait_loadcnt 0x0
	v_cmp_gt_f32_e64 s1, 0, v5
	s_cbranch_vccz .LBB3_197
; %bb.196:                              ;   in Loop: Header=BB3_195 Depth=1
	v_cndmask_b32_e64 v6, 0x7fffffff, 0, s1
	s_mov_b32 s12, 0
	s_delay_alu instid0(VALU_DEP_1)
	v_bitop3_b32 v8, v6, s10, v5 bitop3:0x48
.LBB3_197:                              ;   in Loop: Header=BB3_195 Depth=1
	s_and_not1_b32 vcc_lo, exec_lo, s12
	s_cbranch_vccnz .LBB3_199
; %bb.198:                              ;   in Loop: Header=BB3_195 Depth=1
	v_cndmask_b32_e64 v6, 0x7ff, 0, s1
	s_delay_alu instid0(VALU_DEP_1)
	v_bitop3_b32 v8, v6, v5, 0x7ff bitop3:0x78
.LBB3_199:                              ;   in Loop: Header=BB3_195 Depth=1
	v_ashrrev_i32_e32 v5, 31, v4
	s_mov_b32 s12, 0
	s_mov_b32 s1, exec_lo
                                        ; implicit-def: $vgpr6
                                        ; implicit-def: $vgpr7
	s_wait_dscnt 0x0
	s_wait_xcnt 0x0
	v_cmpx_ge_u32_e64 v8, v3
	s_xor_b32 s1, exec_lo, s1
	s_cbranch_execnz .LBB3_202
; %bb.200:                              ;   in Loop: Header=BB3_195 Depth=1
	s_and_not1_saveexec_b32 s1, s1
	s_cbranch_execnz .LBB3_209
.LBB3_201:                              ;   in Loop: Header=BB3_195 Depth=1
	s_or_b32 exec_lo, exec_lo, s1
	s_and_saveexec_b32 s1, s12
	s_cbranch_execz .LBB3_194
	s_branch .LBB3_212
.LBB3_202:                              ;   in Loop: Header=BB3_195 Depth=1
	s_mov_b32 s13, 0
	s_mov_b32 s12, exec_lo
                                        ; implicit-def: $vgpr6
                                        ; implicit-def: $vgpr7
	v_cmpx_eq_u32_e64 v8, v3
	s_cbranch_execz .LBB3_208
; %bb.203:                              ;   in Loop: Header=BB3_195 Depth=1
	v_lshl_add_u64 v[6:7], v[4:5], 2, s[4:5]
	s_mov_b32 s13, exec_lo
	s_mov_b32 s16, exec_lo
                                        ; implicit-def: $vgpr8
	global_load_b32 v6, v[6:7], off
	s_wait_xcnt 0x0
	v_mbcnt_lo_u32_b32 v7, s13, 0
	s_delay_alu instid0(VALU_DEP_1)
	v_cmpx_eq_u32_e32 0, v7
; %bb.204:                              ;   in Loop: Header=BB3_195 Depth=1
	s_bcnt1_i32_b32 s13, s13
	s_delay_alu instid0(SALU_CYCLE_1)
	v_mov_b32_e32 v8, s13
	ds_add_rtn_u32 v8, v1, v8 offset:512
; %bb.205:                              ;   in Loop: Header=BB3_195 Depth=1
	s_or_b32 exec_lo, exec_lo, s16
	s_wait_dscnt 0x0
	v_readfirstlane_b32 s13, v8
	s_mov_b32 s16, exec_lo
	v_add_nc_u32_e32 v8, s13, v7
	s_mov_b32 s13, 0
                                        ; implicit-def: $vgpr7
	s_delay_alu instid0(VALU_DEP_1)
	v_cmpx_lt_i32_e64 v8, v2
	s_xor_b32 s16, exec_lo, s16
; %bb.206:                              ;   in Loop: Header=BB3_195 Depth=1
	v_xad_u32 v7, v8, -1, s6
	s_mov_b32 s13, exec_lo
; %bb.207:                              ;   in Loop: Header=BB3_195 Depth=1
	s_or_b32 exec_lo, exec_lo, s16
	s_delay_alu instid0(SALU_CYCLE_1)
	s_and_b32 s13, s13, exec_lo
.LBB3_208:                              ;   in Loop: Header=BB3_195 Depth=1
	s_or_b32 exec_lo, exec_lo, s12
	s_delay_alu instid0(SALU_CYCLE_1)
	s_and_b32 s12, s13, exec_lo
	s_and_not1_saveexec_b32 s1, s1
	s_cbranch_execz .LBB3_201
.LBB3_209:                              ;   in Loop: Header=BB3_195 Depth=1
	s_mov_b32 s16, exec_lo
	s_mov_b32 s13, exec_lo
	v_mbcnt_lo_u32_b32 v7, s16, 0
                                        ; implicit-def: $vgpr8
	s_delay_alu instid0(VALU_DEP_1)
	v_cmpx_eq_u32_e32 0, v7
	s_cbranch_execz .LBB3_211
; %bb.210:                              ;   in Loop: Header=BB3_195 Depth=1
	s_bcnt1_i32_b32 s16, s16
	s_wait_loadcnt 0x0
	v_mov_b32_e32 v6, s16
	ds_add_rtn_u32 v8, v1, v6 offset:384
.LBB3_211:                              ;   in Loop: Header=BB3_195 Depth=1
	s_or_b32 exec_lo, exec_lo, s13
	v_lshl_add_u64 v[10:11], v[4:5], 2, s[4:5]
	s_wait_dscnt 0x0
	v_readfirstlane_b32 s13, v8
	s_or_b32 s12, s12, exec_lo
	s_wait_loadcnt 0x0
	global_load_b32 v6, v[10:11], off
	v_add_nc_u32_e32 v7, s13, v7
	s_wait_xcnt 0x0
	s_or_b32 exec_lo, exec_lo, s1
	s_and_saveexec_b32 s1, s12
	s_cbranch_execz .LBB3_194
.LBB3_212:                              ;   in Loop: Header=BB3_195 Depth=1
	s_wait_loadcnt 0x0
	global_store_b32 v7, v6, s[14:15] scale_offset
	s_branch .LBB3_194
.LBB3_213:
	s_or_b32 exec_lo, exec_lo, s8
	s_cbranch_execz .LBB3_215
	s_branch .LBB3_236
.LBB3_214:
.LBB3_215:
	s_and_saveexec_b32 s1, s0
	s_cbranch_execz .LBB3_236
; %bb.216:
	v_mov_b32_e32 v1, 0
	s_lshl_b32 s1, -1, s18
	s_mov_b32 s4, 0
	s_branch .LBB3_218
.LBB3_217:                              ;   in Loop: Header=BB3_218 Depth=1
	s_wait_xcnt 0x0
	s_or_b32 exec_lo, exec_lo, s0
	v_add_nc_u32_e32 v0, s7, v0
	s_delay_alu instid0(VALU_DEP_1) | instskip(SKIP_1) | instid1(SALU_CYCLE_1)
	v_cmp_le_i32_e32 vcc_lo, s9, v0
	s_or_b32 s4, vcc_lo, s4
	s_and_not1_b32 exec_lo, exec_lo, s4
	s_cbranch_execz .LBB3_236
.LBB3_218:                              ; =>This Inner Loop Header: Depth=1
	global_load_b32 v4, v0, s[2:3] scale_offset
	s_and_b32 vcc_lo, exec_lo, s19
	s_mov_b32 s5, -1
                                        ; implicit-def: $vgpr5
	s_wait_loadcnt 0x0
	v_cmp_gt_f32_e64 s0, 0, v4
	s_cbranch_vccz .LBB3_220
; %bb.219:                              ;   in Loop: Header=BB3_218 Depth=1
	v_cndmask_b32_e64 v5, 0x7fffffff, 0, s0
	s_mov_b32 s5, 0
	s_delay_alu instid0(VALU_DEP_1)
	v_bitop3_b32 v5, v5, s1, v4 bitop3:0x48
.LBB3_220:                              ;   in Loop: Header=BB3_218 Depth=1
	s_and_not1_b32 vcc_lo, exec_lo, s5
	s_cbranch_vccnz .LBB3_222
; %bb.221:                              ;   in Loop: Header=BB3_218 Depth=1
	v_cndmask_b32_e64 v5, 0x7ff, 0, s0
	s_delay_alu instid0(VALU_DEP_1)
	v_bitop3_b32 v5, v5, v4, 0x7ff bitop3:0x78
.LBB3_222:                              ;   in Loop: Header=BB3_218 Depth=1
	s_mov_b32 s5, 0
	s_mov_b32 s0, exec_lo
                                        ; implicit-def: $vgpr4
	s_wait_dscnt 0x0
	s_wait_xcnt 0x0
	v_cmpx_ge_u32_e64 v5, v3
	s_xor_b32 s0, exec_lo, s0
	s_cbranch_execnz .LBB3_225
; %bb.223:                              ;   in Loop: Header=BB3_218 Depth=1
	s_and_not1_saveexec_b32 s0, s0
	s_cbranch_execnz .LBB3_232
.LBB3_224:                              ;   in Loop: Header=BB3_218 Depth=1
	s_or_b32 exec_lo, exec_lo, s0
	s_and_saveexec_b32 s0, s5
	s_cbranch_execz .LBB3_217
	s_branch .LBB3_235
.LBB3_225:                              ;   in Loop: Header=BB3_218 Depth=1
	s_mov_b32 s8, 0
	s_mov_b32 s5, exec_lo
                                        ; implicit-def: $vgpr4
	v_cmpx_eq_u32_e64 v5, v3
	s_cbranch_execz .LBB3_231
; %bb.226:                              ;   in Loop: Header=BB3_218 Depth=1
	s_mov_b32 s10, exec_lo
	s_mov_b32 s8, exec_lo
	v_mbcnt_lo_u32_b32 v4, s10, 0
                                        ; implicit-def: $vgpr5
	s_delay_alu instid0(VALU_DEP_1)
	v_cmpx_eq_u32_e32 0, v4
; %bb.227:                              ;   in Loop: Header=BB3_218 Depth=1
	s_bcnt1_i32_b32 s10, s10
	s_delay_alu instid0(SALU_CYCLE_1)
	v_mov_b32_e32 v5, s10
	ds_add_rtn_u32 v5, v1, v5 offset:512
; %bb.228:                              ;   in Loop: Header=BB3_218 Depth=1
	s_or_b32 exec_lo, exec_lo, s8
	s_wait_dscnt 0x0
	v_readfirstlane_b32 s8, v5
	s_mov_b32 s10, exec_lo
	v_add_nc_u32_e32 v5, s8, v4
	s_mov_b32 s8, 0
                                        ; implicit-def: $vgpr4
	s_delay_alu instid0(VALU_DEP_1)
	v_cmpx_lt_i32_e64 v5, v2
	s_xor_b32 s10, exec_lo, s10
; %bb.229:                              ;   in Loop: Header=BB3_218 Depth=1
	v_xad_u32 v4, v5, -1, s6
	s_mov_b32 s8, exec_lo
; %bb.230:                              ;   in Loop: Header=BB3_218 Depth=1
	s_or_b32 exec_lo, exec_lo, s10
	s_delay_alu instid0(SALU_CYCLE_1)
	s_and_b32 s8, s8, exec_lo
.LBB3_231:                              ;   in Loop: Header=BB3_218 Depth=1
	s_or_b32 exec_lo, exec_lo, s5
	s_delay_alu instid0(SALU_CYCLE_1)
	s_and_b32 s5, s8, exec_lo
	s_and_not1_saveexec_b32 s0, s0
	s_cbranch_execz .LBB3_224
.LBB3_232:                              ;   in Loop: Header=BB3_218 Depth=1
	s_mov_b32 s10, exec_lo
	s_mov_b32 s8, exec_lo
	v_mbcnt_lo_u32_b32 v4, s10, 0
                                        ; implicit-def: $vgpr5
	s_delay_alu instid0(VALU_DEP_1)
	v_cmpx_eq_u32_e32 0, v4
; %bb.233:                              ;   in Loop: Header=BB3_218 Depth=1
	s_bcnt1_i32_b32 s10, s10
	s_delay_alu instid0(SALU_CYCLE_1)
	v_mov_b32_e32 v5, s10
	ds_add_rtn_u32 v5, v1, v5 offset:384
; %bb.234:                              ;   in Loop: Header=BB3_218 Depth=1
	s_or_b32 exec_lo, exec_lo, s8
	s_wait_dscnt 0x0
	v_readfirstlane_b32 s8, v5
	s_or_b32 s5, s5, exec_lo
	v_add_nc_u32_e32 v4, s8, v4
	s_or_b32 exec_lo, exec_lo, s0
	s_and_saveexec_b32 s0, s5
	s_cbranch_execz .LBB3_217
.LBB3_235:                              ;   in Loop: Header=BB3_218 Depth=1
	global_store_b32 v4, v0, s[14:15] scale_offset
	s_branch .LBB3_217
.LBB3_236:
	s_endpgm
	.section	.rodata,"a",@progbits
	.p2align	6, 0x0
	.amdhsa_kernel _Z27radix_topk_one_block_kernelIfiLi11ELi1024ELb0ELb0EL5Phase0EEvPKT_PKT0_lS6_S6_S4_PS1_PS4_bPci
		.amdhsa_group_segment_fixed_size 25604
		.amdhsa_private_segment_fixed_size 0
		.amdhsa_kernarg_size 344
		.amdhsa_user_sgpr_count 2
		.amdhsa_user_sgpr_dispatch_ptr 0
		.amdhsa_user_sgpr_queue_ptr 0
		.amdhsa_user_sgpr_kernarg_segment_ptr 1
		.amdhsa_user_sgpr_dispatch_id 0
		.amdhsa_user_sgpr_kernarg_preload_length 0
		.amdhsa_user_sgpr_kernarg_preload_offset 0
		.amdhsa_user_sgpr_private_segment_size 0
		.amdhsa_wavefront_size32 1
		.amdhsa_uses_dynamic_stack 0
		.amdhsa_enable_private_segment 0
		.amdhsa_system_sgpr_workgroup_id_x 1
		.amdhsa_system_sgpr_workgroup_id_y 0
		.amdhsa_system_sgpr_workgroup_id_z 0
		.amdhsa_system_sgpr_workgroup_info 0
		.amdhsa_system_vgpr_workitem_id 0
		.amdhsa_next_free_vgpr 56
		.amdhsa_next_free_sgpr 53
		.amdhsa_named_barrier_count 0
		.amdhsa_reserve_vcc 1
		.amdhsa_float_round_mode_32 0
		.amdhsa_float_round_mode_16_64 0
		.amdhsa_float_denorm_mode_32 3
		.amdhsa_float_denorm_mode_16_64 3
		.amdhsa_fp16_overflow 0
		.amdhsa_memory_ordered 1
		.amdhsa_forward_progress 1
		.amdhsa_inst_pref_size 66
		.amdhsa_round_robin_scheduling 0
		.amdhsa_exception_fp_ieee_invalid_op 0
		.amdhsa_exception_fp_denorm_src 0
		.amdhsa_exception_fp_ieee_div_zero 0
		.amdhsa_exception_fp_ieee_overflow 0
		.amdhsa_exception_fp_ieee_underflow 0
		.amdhsa_exception_fp_ieee_inexact 0
		.amdhsa_exception_int_div_zero 0
	.end_amdhsa_kernel
	.section	.text._Z27radix_topk_one_block_kernelIfiLi11ELi1024ELb0ELb0EL5Phase0EEvPKT_PKT0_lS6_S6_S4_PS1_PS4_bPci,"axG",@progbits,_Z27radix_topk_one_block_kernelIfiLi11ELi1024ELb0ELb0EL5Phase0EEvPKT_PKT0_lS6_S6_S4_PS1_PS4_bPci,comdat
.Lfunc_end3:
	.size	_Z27radix_topk_one_block_kernelIfiLi11ELi1024ELb0ELb0EL5Phase0EEvPKT_PKT0_lS6_S6_S4_PS1_PS4_bPci, .Lfunc_end3-_Z27radix_topk_one_block_kernelIfiLi11ELi1024ELb0ELb0EL5Phase0EEvPKT_PKT0_lS6_S6_S4_PS1_PS4_bPci
                                        ; -- End function
	.set _Z27radix_topk_one_block_kernelIfiLi11ELi1024ELb0ELb0EL5Phase0EEvPKT_PKT0_lS6_S6_S4_PS1_PS4_bPci.num_vgpr, 56
	.set _Z27radix_topk_one_block_kernelIfiLi11ELi1024ELb0ELb0EL5Phase0EEvPKT_PKT0_lS6_S6_S4_PS1_PS4_bPci.num_agpr, 0
	.set _Z27radix_topk_one_block_kernelIfiLi11ELi1024ELb0ELb0EL5Phase0EEvPKT_PKT0_lS6_S6_S4_PS1_PS4_bPci.numbered_sgpr, 53
	.set _Z27radix_topk_one_block_kernelIfiLi11ELi1024ELb0ELb0EL5Phase0EEvPKT_PKT0_lS6_S6_S4_PS1_PS4_bPci.num_named_barrier, 0
	.set _Z27radix_topk_one_block_kernelIfiLi11ELi1024ELb0ELb0EL5Phase0EEvPKT_PKT0_lS6_S6_S4_PS1_PS4_bPci.private_seg_size, 0
	.set _Z27radix_topk_one_block_kernelIfiLi11ELi1024ELb0ELb0EL5Phase0EEvPKT_PKT0_lS6_S6_S4_PS1_PS4_bPci.uses_vcc, 1
	.set _Z27radix_topk_one_block_kernelIfiLi11ELi1024ELb0ELb0EL5Phase0EEvPKT_PKT0_lS6_S6_S4_PS1_PS4_bPci.uses_flat_scratch, 0
	.set _Z27radix_topk_one_block_kernelIfiLi11ELi1024ELb0ELb0EL5Phase0EEvPKT_PKT0_lS6_S6_S4_PS1_PS4_bPci.has_dyn_sized_stack, 0
	.set _Z27radix_topk_one_block_kernelIfiLi11ELi1024ELb0ELb0EL5Phase0EEvPKT_PKT0_lS6_S6_S4_PS1_PS4_bPci.has_recursion, 0
	.set _Z27radix_topk_one_block_kernelIfiLi11ELi1024ELb0ELb0EL5Phase0EEvPKT_PKT0_lS6_S6_S4_PS1_PS4_bPci.has_indirect_call, 0
	.section	.AMDGPU.csdata,"",@progbits
; Kernel info:
; codeLenInByte = 8424
; TotalNumSgprs: 55
; NumVgprs: 56
; ScratchSize: 0
; MemoryBound: 0
; FloatMode: 240
; IeeeMode: 1
; LDSByteSize: 25604 bytes/workgroup (compile time only)
; SGPRBlocks: 0
; VGPRBlocks: 3
; NumSGPRsForWavesPerEU: 55
; NumVGPRsForWavesPerEU: 56
; NamedBarCnt: 0
; Occupancy: 16
; WaveLimiterHint : 0
; COMPUTE_PGM_RSRC2:SCRATCH_EN: 0
; COMPUTE_PGM_RSRC2:USER_SGPR: 2
; COMPUTE_PGM_RSRC2:TRAP_HANDLER: 0
; COMPUTE_PGM_RSRC2:TGID_X_EN: 1
; COMPUTE_PGM_RSRC2:TGID_Y_EN: 0
; COMPUTE_PGM_RSRC2:TGID_Z_EN: 0
; COMPUTE_PGM_RSRC2:TIDIG_COMP_CNT: 0
	.text
	.p2alignl 7, 3214868480
	.fill 96, 4, 3214868480
	.section	.AMDGPU.gpr_maximums,"",@progbits
	.set amdgpu.max_num_vgpr, 0
	.set amdgpu.max_num_agpr, 0
	.set amdgpu.max_num_sgpr, 0
	.text
	.type	__hip_cuid_cef71bce2ed11be8,@object ; @__hip_cuid_cef71bce2ed11be8
	.section	.bss,"aw",@nobits
	.globl	__hip_cuid_cef71bce2ed11be8
__hip_cuid_cef71bce2ed11be8:
	.byte	0                               ; 0x0
	.size	__hip_cuid_cef71bce2ed11be8, 1

	.ident	"AMD clang version 22.0.0git (https://github.com/RadeonOpenCompute/llvm-project roc-7.2.4 26084 f58b06dce1f9c15707c5f808fd002e18c2accf7e)"
	.section	".note.GNU-stack","",@progbits
	.addrsig
	.addrsig_sym __hip_cuid_cef71bce2ed11be8
	.amdgpu_metadata
---
amdhsa.kernels:
  - .args:
      - .address_space:  global
        .offset:         0
        .size:           8
        .value_kind:     global_buffer
      - .offset:         8
        .size:           4
        .value_kind:     by_value
      - .offset:         12
        .size:           4
        .value_kind:     by_value
      - .offset:         16
        .size:           4
        .value_kind:     hidden_block_count_x
      - .offset:         20
        .size:           4
        .value_kind:     hidden_block_count_y
      - .offset:         24
        .size:           4
        .value_kind:     hidden_block_count_z
      - .offset:         28
        .size:           2
        .value_kind:     hidden_group_size_x
      - .offset:         30
        .size:           2
        .value_kind:     hidden_group_size_y
      - .offset:         32
        .size:           2
        .value_kind:     hidden_group_size_z
      - .offset:         34
        .size:           2
        .value_kind:     hidden_remainder_x
      - .offset:         36
        .size:           2
        .value_kind:     hidden_remainder_y
      - .offset:         38
        .size:           2
        .value_kind:     hidden_remainder_z
      - .offset:         56
        .size:           8
        .value_kind:     hidden_global_offset_x
      - .offset:         64
        .size:           8
        .value_kind:     hidden_global_offset_y
      - .offset:         72
        .size:           8
        .value_kind:     hidden_global_offset_z
      - .offset:         80
        .size:           2
        .value_kind:     hidden_grid_dims
    .group_segment_fixed_size: 0
    .kernarg_segment_align: 8
    .kernarg_segment_size: 272
    .language:       OpenCL C
    .language_version:
      - 2
      - 0
    .max_flat_workgroup_size: 1024
    .name:           _Z6init_xPfii
    .private_segment_fixed_size: 0
    .sgpr_count:     10
    .sgpr_spill_count: 0
    .symbol:         _Z6init_xPfii.kd
    .uniform_work_group_size: 1
    .uses_dynamic_stack: false
    .vgpr_count:     4
    .vgpr_spill_count: 0
    .wavefront_size: 32
  - .args:
      - .address_space:  global
        .offset:         0
        .size:           8
        .value_kind:     global_buffer
      - .offset:         8
        .size:           4
        .value_kind:     by_value
      - .offset:         12
        .size:           4
        .value_kind:     by_value
      - .offset:         16
        .size:           4
        .value_kind:     by_value
    .group_segment_fixed_size: 0
    .kernarg_segment_align: 8
    .kernarg_segment_size: 20
    .language:       OpenCL C
    .language_version:
      - 2
      - 0
    .max_flat_workgroup_size: 1024
    .name:           _Z12shuffle_rowsPfiij
    .private_segment_fixed_size: 0
    .sgpr_count:     10
    .sgpr_spill_count: 0
    .symbol:         _Z12shuffle_rowsPfiij.kd
    .uniform_work_group_size: 1
    .uses_dynamic_stack: false
    .vgpr_count:     4
    .vgpr_spill_count: 0
    .wavefront_size: 32
  - .args:
      - .address_space:  global
        .offset:         0
        .size:           8
        .value_kind:     global_buffer
      - .address_space:  global
        .offset:         8
        .size:           8
        .value_kind:     global_buffer
      - .offset:         16
        .size:           8
        .value_kind:     by_value
      - .address_space:  global
        .offset:         24
        .size:           8
        .value_kind:     global_buffer
      - .address_space:  global
        .offset:         32
        .size:           8
        .value_kind:     global_buffer
      - .offset:         40
        .size:           4
        .value_kind:     by_value
      - .address_space:  global
        .offset:         48
        .size:           8
        .value_kind:     global_buffer
      - .address_space:  global
        .offset:         56
        .size:           8
        .value_kind:     global_buffer
      - .offset:         64
        .size:           1
        .value_kind:     by_value
      - .address_space:  global
        .offset:         72
        .size:           8
        .value_kind:     global_buffer
      - .offset:         80
        .size:           4
        .value_kind:     by_value
      - .offset:         88
        .size:           4
        .value_kind:     hidden_block_count_x
      - .offset:         92
        .size:           4
        .value_kind:     hidden_block_count_y
      - .offset:         96
        .size:           4
        .value_kind:     hidden_block_count_z
      - .offset:         100
        .size:           2
        .value_kind:     hidden_group_size_x
      - .offset:         102
        .size:           2
        .value_kind:     hidden_group_size_y
      - .offset:         104
        .size:           2
        .value_kind:     hidden_group_size_z
      - .offset:         106
        .size:           2
        .value_kind:     hidden_remainder_x
      - .offset:         108
        .size:           2
        .value_kind:     hidden_remainder_y
      - .offset:         110
        .size:           2
        .value_kind:     hidden_remainder_z
      - .offset:         128
        .size:           8
        .value_kind:     hidden_global_offset_x
      - .offset:         136
        .size:           8
        .value_kind:     hidden_global_offset_y
      - .offset:         144
        .size:           8
        .value_kind:     hidden_global_offset_z
      - .offset:         152
        .size:           2
        .value_kind:     hidden_grid_dims
    .group_segment_fixed_size: 25604
    .kernarg_segment_align: 8
    .kernarg_segment_size: 344
    .language:       OpenCL C
    .language_version:
      - 2
      - 0
    .max_flat_workgroup_size: 1024
    .name:           _Z27radix_topk_one_block_kernelIfiLi11ELi1024ELb1ELb0EL5Phase0EEvPKT_PKT0_lS6_S6_S4_PS1_PS4_bPci
    .private_segment_fixed_size: 0
    .sgpr_count:     57
    .sgpr_spill_count: 0
    .symbol:         _Z27radix_topk_one_block_kernelIfiLi11ELi1024ELb1ELb0EL5Phase0EEvPKT_PKT0_lS6_S6_S4_PS1_PS4_bPci.kd
    .uniform_work_group_size: 1
    .uses_dynamic_stack: false
    .vgpr_count:     56
    .vgpr_spill_count: 0
    .wavefront_size: 32
  - .args:
      - .address_space:  global
        .offset:         0
        .size:           8
        .value_kind:     global_buffer
      - .address_space:  global
        .offset:         8
        .size:           8
        .value_kind:     global_buffer
      - .offset:         16
        .size:           8
        .value_kind:     by_value
      - .address_space:  global
        .offset:         24
        .size:           8
        .value_kind:     global_buffer
      - .address_space:  global
        .offset:         32
        .size:           8
        .value_kind:     global_buffer
      - .offset:         40
        .size:           4
        .value_kind:     by_value
      - .address_space:  global
        .offset:         48
        .size:           8
        .value_kind:     global_buffer
      - .address_space:  global
        .offset:         56
        .size:           8
        .value_kind:     global_buffer
      - .offset:         64
        .size:           1
        .value_kind:     by_value
      - .address_space:  global
        .offset:         72
        .size:           8
        .value_kind:     global_buffer
      - .offset:         80
        .size:           4
        .value_kind:     by_value
      - .offset:         88
        .size:           4
        .value_kind:     hidden_block_count_x
      - .offset:         92
        .size:           4
        .value_kind:     hidden_block_count_y
      - .offset:         96
        .size:           4
        .value_kind:     hidden_block_count_z
      - .offset:         100
        .size:           2
        .value_kind:     hidden_group_size_x
      - .offset:         102
        .size:           2
        .value_kind:     hidden_group_size_y
      - .offset:         104
        .size:           2
        .value_kind:     hidden_group_size_z
      - .offset:         106
        .size:           2
        .value_kind:     hidden_remainder_x
      - .offset:         108
        .size:           2
        .value_kind:     hidden_remainder_y
      - .offset:         110
        .size:           2
        .value_kind:     hidden_remainder_z
      - .offset:         128
        .size:           8
        .value_kind:     hidden_global_offset_x
      - .offset:         136
        .size:           8
        .value_kind:     hidden_global_offset_y
      - .offset:         144
        .size:           8
        .value_kind:     hidden_global_offset_z
      - .offset:         152
        .size:           2
        .value_kind:     hidden_grid_dims
    .group_segment_fixed_size: 25604
    .kernarg_segment_align: 8
    .kernarg_segment_size: 344
    .language:       OpenCL C
    .language_version:
      - 2
      - 0
    .max_flat_workgroup_size: 1024
    .name:           _Z27radix_topk_one_block_kernelIfiLi11ELi1024ELb0ELb0EL5Phase0EEvPKT_PKT0_lS6_S6_S4_PS1_PS4_bPci
    .private_segment_fixed_size: 0
    .sgpr_count:     55
    .sgpr_spill_count: 0
    .symbol:         _Z27radix_topk_one_block_kernelIfiLi11ELi1024ELb0ELb0EL5Phase0EEvPKT_PKT0_lS6_S6_S4_PS1_PS4_bPci.kd
    .uniform_work_group_size: 1
    .uses_dynamic_stack: false
    .vgpr_count:     56
    .vgpr_spill_count: 0
    .wavefront_size: 32
amdhsa.target:   amdgcn-amd-amdhsa--gfx1250
amdhsa.version:
  - 1
  - 2
...

	.end_amdgpu_metadata
